;; amdgpu-corpus repo=ROCm/rocFFT kind=compiled arch=gfx1201 opt=O3
	.text
	.amdgcn_target "amdgcn-amd-amdhsa--gfx1201"
	.amdhsa_code_object_version 6
	.protected	bluestein_single_fwd_len1925_dim1_dp_op_CI_CI ; -- Begin function bluestein_single_fwd_len1925_dim1_dp_op_CI_CI
	.globl	bluestein_single_fwd_len1925_dim1_dp_op_CI_CI
	.p2align	8
	.type	bluestein_single_fwd_len1925_dim1_dp_op_CI_CI,@function
bluestein_single_fwd_len1925_dim1_dp_op_CI_CI: ; @bluestein_single_fwd_len1925_dim1_dp_op_CI_CI
; %bb.0:
	s_load_b128 s[16:19], s[0:1], 0x28
	v_mul_u32_u24_e32 v1, 0x4a8, v0
	s_mov_b32 s2, exec_lo
	v_mov_b32_e32 v5, 0
	s_delay_alu instid0(VALU_DEP_2) | instskip(NEXT) | instid1(VALU_DEP_1)
	v_lshrrev_b32_e32 v1, 16, v1
	v_add_nc_u32_e32 v4, ttmp9, v1
	s_wait_kmcnt 0x0
	s_delay_alu instid0(VALU_DEP_1)
	v_cmpx_gt_u64_e64 s[16:17], v[4:5]
	s_cbranch_execz .LBB0_10
; %bb.1:
	s_clause 0x1
	s_load_b128 s[4:7], s[0:1], 0x18
	s_load_b128 s[8:11], s[0:1], 0x0
	v_mul_lo_u16 v1, v1, 55
	s_mov_b32 s16, 0xaaaaaaaa
	s_mov_b32 s17, 0xbff2aaaa
	;; [unrolled: 1-line block ×4, first 2 shown]
	v_sub_nc_u16 v152, v0, v1
	s_mov_b32 s21, 0xbfe11646
	s_mov_b32 s25, 0x3fe948f6
	;; [unrolled: 1-line block ×4, first 2 shown]
	v_and_b32_e32 v181, 0xffff, v152
	v_mov_b32_e32 v5, v4
	v_mul_lo_u16 v161, v152, 7
	s_mov_b32 s23, 0x3fd5d0dc
	s_mov_b32 s29, 0xbfd5d0dc
	v_lshlrev_b32_e32 v220, 4, v181
	scratch_store_b64 off, v[5:6], off offset:212 ; 8-byte Folded Spill
	v_and_b32_e32 v161, 0xffff, v161
	s_wait_kmcnt 0x0
	s_load_b128 s[12:15], s[4:5], 0x0
	s_movk_i32 s4, 0x9c50
	global_load_b128 v[60:63], v220, s[8:9]
	s_mov_b32 s5, -1
	s_mov_b32 s28, s22
	v_add_co_u32 v208, null, 0xa5, v181
	v_lshlrev_b32_e32 v182, 4, v161
	s_wait_kmcnt 0x0
	v_mad_co_u64_u32 v[0:1], null, s14, v4, 0
	v_mad_co_u64_u32 v[2:3], null, s12, v181, 0
	s_mul_u64 s[2:3], s[12:13], 0x1130
	s_mul_u64 s[4:5], s[12:13], s[4:5]
	s_delay_alu instid0(VALU_DEP_1) | instskip(SKIP_2) | instid1(VALU_DEP_1)
	v_mad_co_u64_u32 v[4:5], null, s15, v4, v[1:2]
	s_mov_b32 s14, 0x429ad128
	s_mov_b32 s15, 0x3febfeb5
	v_mad_co_u64_u32 v[5:6], null, s13, v181, v[3:4]
	v_mov_b32_e32 v1, v4
	s_mov_b32 s12, 0x37c3f68c
	s_mov_b32 s13, 0x3fdc38aa
	s_delay_alu instid0(VALU_DEP_1) | instskip(NEXT) | instid1(VALU_DEP_3)
	v_lshlrev_b64_e32 v[0:1], 4, v[0:1]
	v_mov_b32_e32 v3, v5
	s_delay_alu instid0(VALU_DEP_2) | instskip(NEXT) | instid1(VALU_DEP_2)
	v_add_co_u32 v0, vcc_lo, s18, v0
	v_lshlrev_b64_e32 v[2:3], 4, v[2:3]
	s_delay_alu instid0(VALU_DEP_4)
	v_add_co_ci_u32_e32 v1, vcc_lo, s19, v1, vcc_lo
	s_mov_b32 s18, 0x5476071b
	s_mov_b32 s19, 0x3fe77f67
	s_wait_alu 0xfffe
	s_mov_b32 s26, s18
	v_add_co_u32 v0, vcc_lo, v0, v2
	s_wait_alu 0xfffd
	v_add_co_ci_u32_e32 v1, vcc_lo, v1, v3, vcc_lo
	s_delay_alu instid0(VALU_DEP_2) | instskip(SKIP_1) | instid1(VALU_DEP_2)
	v_add_co_u32 v4, vcc_lo, v0, s2
	s_wait_alu 0xfffd
	v_add_co_ci_u32_e32 v5, vcc_lo, s3, v1, vcc_lo
	global_load_b128 v[0:3], v[0:1], off
	v_add_co_u32 v8, vcc_lo, v4, s2
	s_wait_alu 0xfffd
	v_add_co_ci_u32_e32 v9, vcc_lo, s3, v5, vcc_lo
	global_load_b128 v[76:79], v220, s[8:9] offset:4400
	global_load_b128 v[4:7], v[4:5], off
	global_load_b128 v[72:75], v220, s[8:9] offset:8800
	global_load_b128 v[16:19], v[8:9], off
	v_add_co_u32 v12, vcc_lo, v8, s2
	s_wait_alu 0xfffd
	v_add_co_ci_u32_e32 v13, vcc_lo, s3, v9, vcc_lo
	global_load_b128 v[84:87], v220, s[8:9] offset:13200
	global_load_b128 v[8:11], v[12:13], off
	v_add_co_u32 v20, vcc_lo, v12, s2
	s_wait_alu 0xfffd
	v_add_co_ci_u32_e32 v21, vcc_lo, s3, v13, vcc_lo
	;; [unrolled: 5-line block ×8, first 2 shown]
	global_load_b128 v[100:103], v220, s[8:9] offset:14080
	v_add_co_u32 v58, vcc_lo, v40, s2
	global_load_b128 v[42:45], v[40:41], off
	s_wait_alu 0xfffd
	v_add_co_ci_u32_e32 v59, vcc_lo, s3, v41, vcc_lo
	s_wait_loadcnt 0x15
	scratch_store_b128 off, v[60:63], off offset:220 ; 16-byte Folded Spill
	s_wait_loadcnt 0x14
	v_mul_f64_e32 v[46:47], v[2:3], v[62:63]
	v_mul_f64_e32 v[48:49], v[0:1], v[62:63]
	s_wait_loadcnt 0x13
	scratch_store_b128 off, v[76:79], off offset:284 ; 16-byte Folded Spill
	s_wait_loadcnt 0x12
	v_mul_f64_e32 v[50:51], v[6:7], v[78:79]
	v_mul_f64_e32 v[52:53], v[4:5], v[78:79]
	s_wait_loadcnt 0x11
	scratch_store_b128 off, v[72:75], off offset:268 ; 16-byte Folded Spill
	s_wait_loadcnt 0x10
	v_mul_f64_e32 v[56:57], v[16:17], v[74:75]
	v_mul_f64_e32 v[54:55], v[18:19], v[74:75]
	s_wait_loadcnt 0xf
	scratch_store_b128 off, v[84:87], off offset:316 ; 16-byte Folded Spill
	s_wait_loadcnt 0xe
	v_mul_f64_e32 v[40:41], v[10:11], v[86:87]
	s_wait_loadcnt 0xd
	scratch_store_b128 off, v[80:83], off offset:300 ; 16-byte Folded Spill
	s_wait_loadcnt 0xb
	scratch_store_b128 off, v[64:67], off offset:236 ; 16-byte Folded Spill
	;; [unrolled: 2-line block ×3, first 2 shown]
	v_fma_f64 v[0:1], v[0:1], v[60:61], v[46:47]
	s_wait_loadcnt 0x7
	scratch_store_b128 off, v[88:91], off offset:332 ; 16-byte Folded Spill
	v_fma_f64 v[2:3], v[2:3], v[60:61], -v[48:49]
	global_load_b128 v[60:63], v220, s[8:9] offset:18480
	global_load_b128 v[46:49], v[58:59], off
	v_fma_f64 v[4:5], v[4:5], v[76:77], v[50:51]
	v_mul_f64_e32 v[50:51], v[8:9], v[86:87]
	v_fma_f64 v[6:7], v[6:7], v[76:77], -v[52:53]
	v_add_co_u32 v52, vcc_lo, v58, s2
	s_wait_alu 0xfffd
	v_add_co_ci_u32_e32 v53, vcc_lo, s3, v59, vcc_lo
	v_fma_f64 v[8:9], v[8:9], v[84:85], v[40:41]
	v_mul_f64_e32 v[40:41], v[14:15], v[82:83]
	s_wait_loadcnt 0x7
	scratch_store_b128 off, v[92:95], off offset:348 ; 16-byte Folded Spill
	s_wait_loadcnt 0x5
	scratch_store_b128 off, v[96:99], off offset:364 ; 16-byte Folded Spill
	v_fma_f64 v[18:19], v[18:19], v[72:73], -v[56:57]
	v_fma_f64 v[16:17], v[16:17], v[72:73], v[54:55]
	s_wait_loadcnt 0x3
	scratch_store_b128 off, v[100:103], off offset:380 ; 16-byte Folded Spill
	v_fma_f64 v[10:11], v[10:11], v[84:85], -v[50:51]
	v_mul_f64_e32 v[50:51], v[12:13], v[82:83]
	v_fma_f64 v[12:13], v[12:13], v[80:81], v[40:41]
	v_mul_f64_e32 v[40:41], v[22:23], v[66:67]
	s_delay_alu instid0(VALU_DEP_3) | instskip(SKIP_1) | instid1(VALU_DEP_3)
	v_fma_f64 v[14:15], v[14:15], v[80:81], -v[50:51]
	v_mul_f64_e32 v[50:51], v[20:21], v[66:67]
	v_fma_f64 v[20:21], v[20:21], v[64:65], v[40:41]
	v_mul_f64_e32 v[40:41], v[26:27], v[70:71]
	s_delay_alu instid0(VALU_DEP_3) | instskip(SKIP_1) | instid1(VALU_DEP_3)
	;; [unrolled: 5-line block ×5, first 2 shown]
	v_fma_f64 v[34:35], v[34:35], v[92:93], -v[50:51]
	v_mul_f64_e32 v[50:51], v[36:37], v[98:99]
	v_fma_f64 v[36:37], v[36:37], v[96:97], v[40:41]
	s_wait_loadcnt 0x2
	v_mul_f64_e32 v[40:41], v[44:45], v[102:103]
	s_delay_alu instid0(VALU_DEP_3) | instskip(SKIP_1) | instid1(VALU_DEP_3)
	v_fma_f64 v[38:39], v[38:39], v[96:97], -v[50:51]
	v_mul_f64_e32 v[50:51], v[42:43], v[102:103]
	v_fma_f64 v[40:41], v[42:43], v[100:101], v[40:41]
	s_delay_alu instid0(VALU_DEP_2)
	v_fma_f64 v[42:43], v[44:45], v[100:101], -v[50:51]
	s_wait_loadcnt 0x1
	scratch_store_b128 off, v[60:63], off offset:572 ; 16-byte Folded Spill
	s_wait_loadcnt 0x0
	v_mul_f64_e32 v[44:45], v[48:49], v[62:63]
	v_mul_f64_e32 v[50:51], v[46:47], v[62:63]
	s_delay_alu instid0(VALU_DEP_2) | instskip(NEXT) | instid1(VALU_DEP_2)
	v_fma_f64 v[44:45], v[46:47], v[60:61], v[44:45]
	v_fma_f64 v[46:47], v[48:49], v[60:61], -v[50:51]
	global_load_b128 v[58:61], v220, s[8:9] offset:22880
	global_load_b128 v[48:51], v[52:53], off
	s_wait_loadcnt 0x1
	scratch_store_b128 off, v[58:61], off offset:652 ; 16-byte Folded Spill
	s_wait_loadcnt 0x0
	v_mul_f64_e32 v[56:57], v[48:49], v[60:61]
	v_mul_f64_e32 v[54:55], v[50:51], v[60:61]
	s_delay_alu instid0(VALU_DEP_2) | instskip(SKIP_3) | instid1(VALU_DEP_4)
	v_fma_f64 v[50:51], v[50:51], v[58:59], -v[56:57]
	v_add_co_u32 v56, vcc_lo, v52, s2
	s_wait_alu 0xfffd
	v_add_co_ci_u32_e32 v57, vcc_lo, s3, v53, vcc_lo
	v_fma_f64 v[48:49], v[48:49], v[58:59], v[54:55]
	global_load_b128 v[62:65], v220, s[8:9] offset:27280
	global_load_b128 v[52:55], v[56:57], off
	s_wait_loadcnt 0x1
	scratch_store_b128 off, v[62:65], off offset:668 ; 16-byte Folded Spill
	s_wait_loadcnt 0x0
	v_mul_f64_e32 v[60:61], v[52:53], v[64:65]
	v_mul_f64_e32 v[58:59], v[54:55], v[64:65]
	s_delay_alu instid0(VALU_DEP_2) | instskip(SKIP_3) | instid1(VALU_DEP_4)
	v_fma_f64 v[54:55], v[54:55], v[62:63], -v[60:61]
	v_add_co_u32 v60, vcc_lo, v56, s4
	s_wait_alu 0xfffd
	v_add_co_ci_u32_e32 v61, vcc_lo, s5, v57, vcc_lo
	v_fma_f64 v[52:53], v[52:53], v[62:63], v[58:59]
	;; [unrolled: 13-line block ×21, first 2 shown]
	global_load_b128 v[142:145], v220, s[8:9] offset:25520
	global_load_b128 v[132:135], v[136:137], off
	v_add_co_u32 v136, vcc_lo, v136, s2
	s_wait_alu 0xfffd
	v_add_co_ci_u32_e32 v137, vcc_lo, s3, v137, vcc_lo
	s_mov_b32 s2, 0x36b3c0b5
	s_mov_b32 s3, 0x3fac98ee
	v_cmp_gt_u16_e64 vcc_lo, 10, v152
	s_wait_loadcnt 0x1
	scratch_store_b128 off, v[142:145], off offset:524 ; 16-byte Folded Spill
	s_wait_loadcnt 0x0
	v_mul_f64_e32 v[138:139], v[134:135], v[144:145]
	v_mul_f64_e32 v[140:141], v[132:133], v[144:145]
	s_delay_alu instid0(VALU_DEP_2)
	v_fma_f64 v[132:133], v[132:133], v[142:143], v[138:139]
	global_load_b128 v[136:139], v[136:137], off
	global_load_b128 v[144:147], v220, s[8:9] offset:29920
	v_fma_f64 v[134:135], v[134:135], v[142:143], -v[140:141]
	s_wait_loadcnt 0x0
	v_mul_f64_e32 v[140:141], v[138:139], v[146:147]
	v_mul_f64_e32 v[142:143], v[136:137], v[146:147]
	scratch_store_b128 off, v[144:147], off offset:540 ; 16-byte Folded Spill
	v_fma_f64 v[136:137], v[136:137], v[144:145], v[140:141]
	v_fma_f64 v[138:139], v[138:139], v[144:145], -v[142:143]
	ds_store_b128 v220, v[0:3]
	ds_store_b128 v220, v[4:7] offset:4400
	ds_store_b128 v220, v[16:19] offset:8800
	;; [unrolled: 1-line block ×34, first 2 shown]
	s_load_b128 s[4:7], s[6:7], 0x0
	global_wb scope:SCOPE_SE
	s_wait_storecnt_dscnt 0x0
	s_wait_kmcnt 0x0
	s_barrier_signal -1
	s_barrier_wait -1
	global_inv scope:SCOPE_SE
	ds_load_b128 v[0:3], v220 offset:4400
	ds_load_b128 v[8:11], v220 offset:26400
	s_wait_dscnt 0x0
	v_add_f64_e32 v[4:5], v[0:1], v[8:9]
	v_add_f64_e32 v[6:7], v[2:3], v[10:11]
	v_add_f64_e64 v[20:21], v[0:1], -v[8:9]
	v_add_f64_e64 v[22:23], v[2:3], -v[10:11]
	ds_load_b128 v[0:3], v220 offset:22000
	ds_load_b128 v[8:11], v220 offset:8800
	s_wait_dscnt 0x0
	v_add_f64_e32 v[38:39], v[8:9], v[0:1]
	v_add_f64_e32 v[36:37], v[10:11], v[2:3]
	v_add_f64_e64 v[34:35], v[8:9], -v[0:1]
	v_add_f64_e64 v[32:33], v[10:11], -v[2:3]
	;; [unrolled: 7-line block ×3, first 2 shown]
	ds_load_b128 v[0:3], v220 offset:27280
	ds_load_b128 v[8:11], v220 offset:5280
	v_add_f64_e64 v[161:162], v[38:39], -v[4:5]
	v_add_f64_e64 v[165:166], v[36:37], -v[6:7]
	s_wait_dscnt 0x0
	v_add_f64_e32 v[40:41], v[8:9], v[0:1]
	v_add_f64_e32 v[42:43], v[10:11], v[2:3]
	v_add_f64_e64 v[44:45], v[8:9], -v[0:1]
	v_add_f64_e64 v[46:47], v[10:11], -v[2:3]
	ds_load_b128 v[0:3], v220 offset:9680
	ds_load_b128 v[8:11], v220 offset:22880
	v_add_f64_e64 v[163:164], v[24:25], -v[38:39]
	v_add_f64_e64 v[167:168], v[26:27], -v[36:37]
	s_wait_dscnt 0x0
	v_add_f64_e32 v[62:63], v[0:1], v[8:9]
	v_add_f64_e32 v[60:61], v[2:3], v[10:11]
	v_add_f64_e64 v[58:59], v[0:1], -v[8:9]
	v_add_f64_e64 v[56:57], v[2:3], -v[10:11]
	ds_load_b128 v[0:3], v220 offset:18480
	ds_load_b128 v[8:11], v220 offset:14080
	s_wait_dscnt 0x0
	v_add_f64_e32 v[48:49], v[8:9], v[0:1]
	v_add_f64_e32 v[50:51], v[10:11], v[2:3]
	v_add_f64_e64 v[52:53], v[0:1], -v[8:9]
	v_add_f64_e64 v[54:55], v[2:3], -v[10:11]
	ds_load_b128 v[0:3], v220 offset:6160
	ds_load_b128 v[8:11], v220 offset:28160
	;; [unrolled: 7-line block ×10, first 2 shown]
	s_wait_dscnt 0x0
	v_add_f64_e32 v[120:121], v[8:9], v[0:1]
	v_add_f64_e64 v[124:125], v[0:1], -v[8:9]
	v_add_f64_e32 v[0:1], v[38:39], v[4:5]
	v_add_f64_e32 v[122:123], v[10:11], v[2:3]
	v_add_f64_e64 v[126:127], v[2:3], -v[10:11]
	v_add_f64_e64 v[38:39], v[28:29], -v[34:35]
	;; [unrolled: 1-line block ×3, first 2 shown]
	v_add_f64_e32 v[12:13], v[134:135], v[112:113]
	v_add_f64_e32 v[157:158], v[24:25], v[0:1]
	;; [unrolled: 1-line block ×4, first 2 shown]
	v_add_f64_e64 v[34:35], v[34:35], -v[20:21]
	v_add_f64_e64 v[6:7], v[6:7], -v[26:27]
	v_mul_f64_e32 v[173:174], s[20:21], v[38:39]
	v_add_f64_e64 v[28:29], v[20:21], -v[28:29]
	v_mul_f64_e32 v[4:5], s[24:25], v[4:5]
	v_mul_f64_e32 v[38:39], s[2:3], v[167:168]
	v_add_f64_e32 v[136:137], v[120:121], v[12:13]
	v_add_f64_e32 v[12:13], v[132:133], v[114:115]
	;; [unrolled: 1-line block ×3, first 2 shown]
	ds_load_b128 v[0:3], v220
	v_add_f64_e32 v[169:170], v[36:37], v[20:21]
	v_mul_f64_e32 v[20:21], s[14:15], v[34:35]
	v_mul_f64_e32 v[6:7], s[24:25], v[6:7]
	;; [unrolled: 1-line block ×3, first 2 shown]
	v_fma_f64 v[24:25], v[161:162], s[26:27], -v[4:5]
	v_fma_f64 v[4:5], v[163:164], s[2:3], v[4:5]
	v_fma_f64 v[38:39], v[165:166], s[18:19], -v[38:39]
	v_add_f64_e64 v[163:164], v[54:55], -v[56:57]
	v_add_f64_e32 v[138:139], v[122:123], v[12:13]
	ds_load_b128 v[12:15], v220 offset:3520
	s_wait_dscnt 0x1
	v_add_f64_e32 v[153:154], v[0:1], v[157:158]
	v_add_f64_e32 v[0:1], v[62:63], v[40:41]
	s_wait_dscnt 0x0
	v_add_f64_e32 v[12:13], v[12:13], v[136:137]
	v_add_f64_e32 v[155:156], v[2:3], v[159:160]
	v_fma_f64 v[20:21], v[28:29], s[28:29], -v[20:21]
	v_fma_f64 v[26:27], v[165:166], s[26:27], -v[6:7]
	v_fma_f64 v[28:29], v[28:29], s[22:23], v[173:174]
	v_fma_f64 v[6:7], v[167:168], s[2:3], v[6:7]
	v_fma_f64 v[36:37], v[161:162], s[18:19], -v[36:37]
	v_add_f64_e64 v[161:162], v[58:59], -v[44:45]
	v_add_f64_e64 v[165:166], v[56:57], -v[46:47]
	v_mul_f64_e32 v[163:164], s[20:21], v[163:164]
	v_add_f64_e32 v[14:15], v[14:15], v[138:139]
	v_fma_f64 v[157:158], v[157:158], s[16:17], v[153:154]
	v_add_f64_e32 v[148:149], v[48:49], v[0:1]
	v_add_f64_e32 v[0:1], v[60:61], v[42:43]
	v_fma_f64 v[136:137], v[136:137], s[16:17], v[12:13]
	v_fma_f64 v[159:160], v[159:160], s[16:17], v[155:156]
	;; [unrolled: 1-line block ×3, first 2 shown]
	v_add_f64_e32 v[24:25], v[24:25], v[157:158]
	v_add_f64_e32 v[4:5], v[4:5], v[157:158]
	;; [unrolled: 1-line block ×3, first 2 shown]
	ds_load_b128 v[0:3], v220 offset:880
	v_add_f64_e32 v[177:178], v[36:37], v[157:158]
	v_add_f64_e32 v[26:27], v[26:27], v[159:160]
	;; [unrolled: 1-line block ×4, first 2 shown]
	s_wait_dscnt 0x0
	v_add_f64_e32 v[16:17], v[0:1], v[148:149]
	v_add_f64_e32 v[0:1], v[86:87], v[64:65]
	;; [unrolled: 1-line block ×3, first 2 shown]
	s_delay_alu instid0(VALU_DEP_3) | instskip(NEXT) | instid1(VALU_DEP_3)
	v_fma_f64 v[148:149], v[148:149], s[16:17], v[16:17]
	v_add_f64_e32 v[144:145], v[72:73], v[0:1]
	v_add_f64_e32 v[0:1], v[84:85], v[66:67]
	s_delay_alu instid0(VALU_DEP_4) | instskip(NEXT) | instid1(VALU_DEP_2)
	v_fma_f64 v[150:151], v[150:151], s[16:17], v[18:19]
	v_add_f64_e32 v[146:147], v[74:75], v[0:1]
	ds_load_b128 v[0:3], v220 offset:1760
	s_wait_dscnt 0x0
	v_add_f64_e32 v[8:9], v[0:1], v[144:145]
	v_add_f64_e32 v[0:1], v[110:111], v[88:89]
	;; [unrolled: 1-line block ×3, first 2 shown]
	s_delay_alu instid0(VALU_DEP_3) | instskip(NEXT) | instid1(VALU_DEP_3)
	v_fma_f64 v[144:145], v[144:145], s[16:17], v[8:9]
	v_add_f64_e32 v[140:141], v[96:97], v[0:1]
	v_add_f64_e32 v[0:1], v[108:109], v[90:91]
	s_delay_alu instid0(VALU_DEP_4) | instskip(NEXT) | instid1(VALU_DEP_2)
	v_fma_f64 v[146:147], v[146:147], s[16:17], v[10:11]
	v_add_f64_e32 v[142:143], v[98:99], v[0:1]
	ds_load_b128 v[0:3], v220 offset:2640
	global_wb scope:SCOPE_SE
	s_wait_dscnt 0x0
	s_barrier_signal -1
	s_barrier_wait -1
	global_inv scope:SCOPE_SE
	ds_store_b128 v182, v[153:156]
	v_add_f64_e32 v[153:154], v[30:31], v[32:33]
	v_add_f64_e64 v[155:156], v[30:31], -v[32:33]
	v_add_f64_e64 v[32:33], v[32:33], -v[22:23]
	;; [unrolled: 1-line block ×3, first 2 shown]
	v_add_f64_e32 v[0:1], v[0:1], v[140:141]
	v_add_f64_e32 v[2:3], v[2:3], v[142:143]
	;; [unrolled: 1-line block ×3, first 2 shown]
	v_mul_f64_e32 v[175:176], s[20:21], v[155:156]
	v_mul_f64_e32 v[22:23], s[14:15], v[32:33]
	v_fma_f64 v[153:154], v[34:35], s[14:15], -v[173:174]
	v_fma_f64 v[140:141], v[140:141], s[16:17], v[0:1]
	v_fma_f64 v[142:143], v[142:143], s[16:17], v[2:3]
	s_delay_alu instid0(VALU_DEP_4) | instskip(NEXT) | instid1(VALU_DEP_4)
	v_fma_f64 v[22:23], v[30:31], s[28:29], -v[22:23]
	v_fma_f64 v[155:156], v[169:170], s[12:13], v[153:154]
	v_fma_f64 v[153:154], v[32:33], s[14:15], -v[175:176]
	v_fma_f64 v[32:33], v[169:170], s[12:13], v[20:21]
	v_fma_f64 v[30:31], v[30:31], s[22:23], v[175:176]
	;; [unrolled: 1-line block ×3, first 2 shown]
	v_add_f64_e32 v[38:39], v[155:156], v[179:180]
	v_fma_f64 v[153:154], v[171:172], s[12:13], v[153:154]
	v_add_f64_e64 v[22:23], v[26:27], -v[32:33]
	v_add_f64_e32 v[26:27], v[32:33], v[26:27]
	v_fma_f64 v[32:33], v[169:170], s[12:13], v[28:29]
	v_add_f64_e64 v[155:156], v[179:180], -v[155:156]
	v_add_f64_e32 v[20:21], v[24:25], v[34:35]
	v_add_f64_e64 v[24:25], v[24:25], -v[34:35]
	v_fma_f64 v[34:35], v[171:172], s[12:13], v[30:31]
	v_add_f64_e64 v[36:37], v[177:178], -v[153:154]
	v_add_f64_e32 v[153:154], v[177:178], v[153:154]
	v_add_f64_e64 v[30:31], v[6:7], -v[32:33]
	v_add_f64_e32 v[159:160], v[32:33], v[6:7]
	v_add_f64_e64 v[6:7], v[48:49], -v[62:63]
	v_add_f64_e64 v[32:33], v[60:61], -v[42:43]
	;; [unrolled: 1-line block ×3, first 2 shown]
	v_add_f64_e32 v[28:29], v[4:5], v[34:35]
	v_add_f64_e64 v[157:158], v[4:5], -v[34:35]
	v_add_f64_e64 v[4:5], v[62:63], -v[40:41]
	;; [unrolled: 1-line block ×3, first 2 shown]
	v_add_f64_e32 v[60:61], v[52:53], v[58:59]
	v_add_f64_e64 v[62:63], v[52:53], -v[58:59]
	v_add_f64_e32 v[58:59], v[54:55], v[56:57]
	v_add_f64_e64 v[40:41], v[40:41], -v[48:49]
	v_mul_f64_e32 v[56:57], s[2:3], v[6:7]
	v_add_f64_e64 v[48:49], v[44:45], -v[52:53]
	v_add_f64_e64 v[50:51], v[46:47], -v[54:55]
	v_mul_f64_e32 v[54:55], s[24:25], v[42:43]
	ds_store_b128 v182, v[28:31] offset:16
	ds_store_b128 v182, v[20:23] offset:32
	;; [unrolled: 1-line block ×5, first 2 shown]
	scratch_store_b32 off, v182, off offset:900 ; 4-byte Folded Spill
	ds_store_b128 v182, v[157:160] offset:96
                                        ; implicit-def: $vgpr36_vgpr37
	v_add_f64_e32 v[167:168], v[60:61], v[44:45]
	v_mul_f64_e32 v[44:45], s[14:15], v[161:162]
	v_add_f64_e32 v[169:170], v[58:59], v[46:47]
	v_mul_f64_e32 v[58:59], s[2:3], v[34:35]
	v_mul_f64_e32 v[46:47], s[14:15], v[165:166]
	;; [unrolled: 1-line block ×3, first 2 shown]
	v_fma_f64 v[56:57], v[4:5], s[18:19], -v[56:57]
	v_mul_f64_e32 v[171:172], s[20:21], v[62:63]
	v_fma_f64 v[34:35], v[34:35], s[2:3], v[54:55]
	v_fma_f64 v[40:41], v[48:49], s[28:29], -v[44:45]
	v_fma_f64 v[58:59], v[32:33], s[18:19], -v[58:59]
	;; [unrolled: 1-line block ×5, first 2 shown]
	v_fma_f64 v[6:7], v[6:7], s[2:3], v[52:53]
	v_add_f64_e32 v[34:35], v[34:35], v[150:151]
	v_fma_f64 v[60:61], v[161:162], s[14:15], -v[171:172]
	v_add_f64_e32 v[173:174], v[56:57], v[148:149]
	v_add_f64_e64 v[161:162], v[80:81], -v[70:71]
	v_fma_f64 v[46:47], v[167:168], s[12:13], v[40:41]
	v_add_f64_e32 v[175:176], v[58:59], v[150:151]
	v_fma_f64 v[44:45], v[169:170], s[12:13], v[42:43]
	v_add_f64_e32 v[4:5], v[4:5], v[148:149]
	v_add_f64_e32 v[32:33], v[32:33], v[150:151]
	;; [unrolled: 1-line block ×3, first 2 shown]
	v_add_f64_e64 v[148:149], v[82:83], -v[68:69]
	v_fma_f64 v[62:63], v[167:168], s[12:13], v[60:61]
	v_fma_f64 v[60:61], v[165:166], s[14:15], -v[163:164]
	v_add_f64_e64 v[150:151], v[78:79], -v[80:81]
	v_add_f64_e32 v[40:41], v[4:5], v[44:45]
	v_add_f64_e64 v[42:43], v[32:33], -v[46:47]
	v_add_f64_e64 v[44:45], v[4:5], -v[44:45]
	v_add_f64_e32 v[46:47], v[46:47], v[32:33]
	v_fma_f64 v[4:5], v[48:49], s[22:23], v[171:172]
	v_fma_f64 v[32:33], v[50:51], s[22:23], v[163:164]
	v_mul_f64_e32 v[150:151], s[20:21], v[150:151]
	v_fma_f64 v[60:61], v[169:170], s[12:13], v[60:61]
	v_add_f64_e32 v[58:59], v[62:63], v[175:176]
	v_add_f64_e64 v[62:63], v[175:176], -v[62:63]
	v_fma_f64 v[4:5], v[167:168], s[12:13], v[4:5]
	v_fma_f64 v[32:33], v[169:170], s[12:13], v[32:33]
	v_add_f64_e64 v[56:57], v[173:174], -v[60:61]
	v_add_f64_e32 v[60:61], v[173:174], v[60:61]
	s_delay_alu instid0(VALU_DEP_4) | instskip(NEXT) | instid1(VALU_DEP_4)
	v_add_f64_e64 v[50:51], v[34:35], -v[4:5]
	v_add_f64_e32 v[48:49], v[6:7], v[32:33]
	v_add_f64_e64 v[52:53], v[6:7], -v[32:33]
	v_add_f64_e32 v[54:55], v[4:5], v[34:35]
	v_add_f64_e64 v[4:5], v[86:87], -v[64:65]
	v_add_f64_e64 v[6:7], v[72:73], -v[86:87]
	;; [unrolled: 1-line block ×4, first 2 shown]
	v_add_f64_e32 v[84:85], v[76:77], v[82:83]
	v_add_f64_e64 v[86:87], v[76:77], -v[82:83]
	v_add_f64_e32 v[82:83], v[78:79], v[80:81]
	v_add_f64_e64 v[64:65], v[64:65], -v[72:73]
	v_add_f64_e64 v[66:67], v[66:67], -v[74:75]
	v_add_f64_e64 v[72:73], v[68:69], -v[76:77]
	v_add_f64_e64 v[74:75], v[70:71], -v[78:79]
	v_mul_f64_e32 v[80:81], s[2:3], v[6:7]
	v_add_f64_e32 v[163:164], v[84:85], v[68:69]
	v_mul_f64_e32 v[68:69], s[14:15], v[148:149]
	v_add_f64_e32 v[165:166], v[82:83], v[70:71]
	v_mul_f64_e32 v[82:83], s[2:3], v[34:35]
	v_mul_f64_e32 v[70:71], s[14:15], v[161:162]
	;; [unrolled: 1-line block ×5, first 2 shown]
	v_fma_f64 v[80:81], v[4:5], s[18:19], -v[80:81]
	v_fma_f64 v[64:65], v[72:73], s[28:29], -v[68:69]
	;; [unrolled: 1-line block ×6, first 2 shown]
	v_fma_f64 v[6:7], v[6:7], s[2:3], v[76:77]
	v_fma_f64 v[34:35], v[34:35], s[2:3], v[78:79]
	v_fma_f64 v[84:85], v[148:149], s[14:15], -v[167:168]
	v_add_f64_e64 v[148:149], v[104:105], -v[94:95]
	v_add_f64_e32 v[169:170], v[80:81], v[144:145]
	v_fma_f64 v[70:71], v[163:164], s[12:13], v[64:65]
	v_add_f64_e32 v[171:172], v[82:83], v[146:147]
	v_fma_f64 v[68:69], v[165:166], s[12:13], v[66:67]
	v_add_f64_e32 v[4:5], v[4:5], v[144:145]
	v_add_f64_e32 v[32:33], v[32:33], v[146:147]
	;; [unrolled: 1-line block ×4, first 2 shown]
	v_add_f64_e64 v[144:145], v[106:107], -v[92:93]
	v_fma_f64 v[86:87], v[163:164], s[12:13], v[84:85]
	v_fma_f64 v[84:85], v[161:162], s[14:15], -v[150:151]
	v_add_f64_e64 v[146:147], v[102:103], -v[104:105]
	v_add_f64_e32 v[64:65], v[4:5], v[68:69]
	v_add_f64_e64 v[66:67], v[32:33], -v[70:71]
	v_add_f64_e64 v[68:69], v[4:5], -v[68:69]
	v_add_f64_e32 v[70:71], v[70:71], v[32:33]
	v_fma_f64 v[4:5], v[72:73], s[22:23], v[167:168]
	v_fma_f64 v[32:33], v[74:75], s[22:23], v[150:151]
	v_fma_f64 v[84:85], v[165:166], s[12:13], v[84:85]
	v_mul_f64_e32 v[146:147], s[20:21], v[146:147]
	v_add_f64_e32 v[82:83], v[86:87], v[171:172]
	v_add_f64_e64 v[86:87], v[171:172], -v[86:87]
	v_fma_f64 v[4:5], v[163:164], s[12:13], v[4:5]
	v_fma_f64 v[32:33], v[165:166], s[12:13], v[32:33]
	v_add_f64_e64 v[80:81], v[169:170], -v[84:85]
	v_add_f64_e32 v[84:85], v[169:170], v[84:85]
	s_delay_alu instid0(VALU_DEP_4) | instskip(NEXT) | instid1(VALU_DEP_4)
	v_add_f64_e64 v[74:75], v[34:35], -v[4:5]
	v_add_f64_e32 v[72:73], v[6:7], v[32:33]
	v_add_f64_e64 v[76:77], v[6:7], -v[32:33]
	v_add_f64_e32 v[78:79], v[4:5], v[34:35]
	v_add_f64_e64 v[4:5], v[110:111], -v[88:89]
	v_add_f64_e64 v[6:7], v[96:97], -v[110:111]
	;; [unrolled: 1-line block ×4, first 2 shown]
	v_add_f64_e32 v[108:109], v[100:101], v[106:107]
	v_add_f64_e64 v[110:111], v[100:101], -v[106:107]
	v_add_f64_e32 v[106:107], v[102:103], v[104:105]
	v_add_f64_e64 v[88:89], v[88:89], -v[96:97]
	v_add_f64_e64 v[90:91], v[90:91], -v[98:99]
	;; [unrolled: 1-line block ×4, first 2 shown]
	v_mul_f64_e32 v[104:105], s[2:3], v[6:7]
	v_add_f64_e32 v[150:151], v[108:109], v[92:93]
	v_mul_f64_e32 v[92:93], s[14:15], v[144:145]
	v_add_f64_e32 v[161:162], v[106:107], v[94:95]
	v_mul_f64_e32 v[106:107], s[2:3], v[34:35]
	v_mul_f64_e32 v[94:95], s[14:15], v[148:149]
	;; [unrolled: 1-line block ×5, first 2 shown]
	v_fma_f64 v[104:105], v[4:5], s[18:19], -v[104:105]
	v_fma_f64 v[88:89], v[96:97], s[28:29], -v[92:93]
	;; [unrolled: 1-line block ×6, first 2 shown]
	v_fma_f64 v[6:7], v[6:7], s[2:3], v[100:101]
	v_fma_f64 v[34:35], v[34:35], s[2:3], v[102:103]
	v_fma_f64 v[108:109], v[144:145], s[14:15], -v[163:164]
	v_add_f64_e64 v[144:145], v[128:129], -v[118:119]
	v_add_f64_e32 v[165:166], v[104:105], v[140:141]
	v_fma_f64 v[94:95], v[150:151], s[12:13], v[88:89]
	v_add_f64_e32 v[167:168], v[106:107], v[142:143]
	v_fma_f64 v[92:93], v[161:162], s[12:13], v[90:91]
	v_add_f64_e32 v[4:5], v[4:5], v[140:141]
	v_add_f64_e32 v[32:33], v[32:33], v[142:143]
	;; [unrolled: 1-line block ×4, first 2 shown]
	v_add_f64_e64 v[140:141], v[130:131], -v[116:117]
	v_fma_f64 v[110:111], v[150:151], s[12:13], v[108:109]
	v_fma_f64 v[108:109], v[148:149], s[14:15], -v[146:147]
	v_add_f64_e64 v[142:143], v[126:127], -v[128:129]
	v_add_f64_e32 v[88:89], v[4:5], v[92:93]
	v_add_f64_e64 v[90:91], v[32:33], -v[94:95]
	v_add_f64_e64 v[92:93], v[4:5], -v[92:93]
	v_add_f64_e32 v[94:95], v[94:95], v[32:33]
	v_fma_f64 v[4:5], v[96:97], s[22:23], v[163:164]
	v_fma_f64 v[32:33], v[98:99], s[22:23], v[146:147]
	;; [unrolled: 1-line block ×3, first 2 shown]
	v_mul_f64_e32 v[142:143], s[20:21], v[142:143]
	v_add_f64_e32 v[106:107], v[110:111], v[167:168]
	v_add_f64_e64 v[110:111], v[167:168], -v[110:111]
	v_fma_f64 v[4:5], v[150:151], s[12:13], v[4:5]
	v_fma_f64 v[32:33], v[161:162], s[12:13], v[32:33]
	v_add_f64_e64 v[104:105], v[165:166], -v[108:109]
	v_add_f64_e32 v[108:109], v[165:166], v[108:109]
	s_delay_alu instid0(VALU_DEP_4) | instskip(NEXT) | instid1(VALU_DEP_4)
	v_add_f64_e64 v[98:99], v[34:35], -v[4:5]
	v_add_f64_e32 v[96:97], v[6:7], v[32:33]
	v_add_f64_e64 v[100:101], v[6:7], -v[32:33]
	v_add_f64_e32 v[102:103], v[4:5], v[34:35]
	v_add_f64_e64 v[4:5], v[134:135], -v[112:113]
	v_add_f64_e64 v[32:33], v[120:121], -v[134:135]
	v_add_f64_e64 v[6:7], v[132:133], -v[114:115]
	v_add_f64_e64 v[34:35], v[122:123], -v[132:133]
	v_add_f64_e32 v[132:133], v[124:125], v[130:131]
	v_add_f64_e64 v[134:135], v[124:125], -v[130:131]
	v_add_f64_e32 v[130:131], v[126:127], v[128:129]
	v_add_f64_e64 v[112:113], v[112:113], -v[120:121]
	v_add_f64_e64 v[114:115], v[114:115], -v[122:123]
	v_mul_f64_e32 v[120:121], s[14:15], v[140:141]
	v_mul_f64_e32 v[122:123], s[14:15], v[144:145]
	;; [unrolled: 1-line block ×3, first 2 shown]
	v_add_f64_e32 v[146:147], v[132:133], v[116:117]
	v_add_f64_e64 v[116:117], v[116:117], -v[124:125]
	v_add_f64_e32 v[148:149], v[130:131], v[118:119]
	v_mul_f64_e32 v[130:131], s[2:3], v[34:35]
	v_add_f64_e64 v[118:119], v[118:119], -v[126:127]
	v_mul_f64_e32 v[124:125], s[24:25], v[112:113]
	v_mul_f64_e32 v[126:127], s[24:25], v[114:115]
	;; [unrolled: 1-line block ×3, first 2 shown]
	v_fma_f64 v[128:129], v[4:5], s[18:19], -v[128:129]
	v_fma_f64 v[112:113], v[116:117], s[28:29], -v[120:121]
	v_fma_f64 v[130:131], v[6:7], s[18:19], -v[130:131]
	v_fma_f64 v[114:115], v[118:119], s[28:29], -v[122:123]
	v_fma_f64 v[4:5], v[4:5], s[26:27], -v[124:125]
	v_fma_f64 v[6:7], v[6:7], s[26:27], -v[126:127]
	v_fma_f64 v[132:133], v[140:141], s[14:15], -v[150:151]
	v_fma_f64 v[116:117], v[116:117], s[22:23], v[150:151]
	v_fma_f64 v[118:119], v[118:119], s[22:23], v[142:143]
	;; [unrolled: 1-line block ×4, first 2 shown]
	s_load_b64 s[2:3], s[0:1], 0x38
	v_add_f64_e32 v[161:162], v[128:129], v[136:137]
	v_fma_f64 v[120:121], v[146:147], s[12:13], v[112:113]
	v_add_f64_e32 v[163:164], v[130:131], v[138:139]
	v_fma_f64 v[122:123], v[148:149], s[12:13], v[114:115]
	v_add_f64_e32 v[4:5], v[4:5], v[136:137]
	v_add_f64_e32 v[6:7], v[6:7], v[138:139]
	v_fma_f64 v[134:135], v[146:147], s[12:13], v[132:133]
	v_fma_f64 v[132:133], v[144:145], s[14:15], -v[142:143]
	v_add_f64_e32 v[32:33], v[32:33], v[136:137]
	v_add_f64_e32 v[34:35], v[34:35], v[138:139]
	;; [unrolled: 1-line block ×3, first 2 shown]
	v_add_f64_e64 v[114:115], v[6:7], -v[120:121]
	v_add_f64_e64 v[232:233], v[4:5], -v[122:123]
	v_add_f64_e32 v[234:235], v[120:121], v[6:7]
	v_fma_f64 v[120:121], v[146:147], s[12:13], v[116:117]
	v_fma_f64 v[122:123], v[148:149], s[12:13], v[118:119]
	;; [unrolled: 1-line block ×3, first 2 shown]
	v_add_co_u32 v182, s12, v181, 55
	v_add_co_u32 v209, s13, 0x6e, v181
	v_add_f64_e32 v[130:131], v[134:135], v[163:164]
	s_delay_alu instid0(VALU_DEP_3) | instskip(SKIP_1) | instid1(VALU_DEP_2)
	v_mul_u32_u24_e32 v4, 7, v182
	v_add_f64_e64 v[134:135], v[163:164], -v[134:135]
	v_lshlrev_b32_e32 v4, 4, v4
	ds_store_b128 v4, v[16:19]
	ds_store_b128 v4, v[48:51] offset:16
	ds_store_b128 v4, v[40:43] offset:32
	;; [unrolled: 1-line block ×5, first 2 shown]
	scratch_store_b32 off, v4, off offset:1360 ; 4-byte Folded Spill
	ds_store_b128 v4, v[52:55] offset:96
	v_mul_u32_u24_e32 v4, 7, v209
                                        ; implicit-def: $vgpr44_vgpr45
                                        ; implicit-def: $vgpr56_vgpr57
                                        ; implicit-def: $vgpr40_vgpr41
                                        ; implicit-def: $vgpr52_vgpr53
                                        ; implicit-def: $vgpr48_vgpr49
                                        ; implicit-def: $vgpr60_vgpr61
	s_delay_alu instid0(VALU_DEP_1)
	v_lshlrev_b32_e32 v4, 4, v4
	ds_store_b128 v4, v[8:11]
	ds_store_b128 v4, v[72:75] offset:16
	ds_store_b128 v4, v[64:67] offset:32
	ds_store_b128 v4, v[80:83] offset:48
	ds_store_b128 v4, v[84:87] offset:64
	ds_store_b128 v4, v[68:71] offset:80
	scratch_store_b32 off, v4, off offset:1380 ; 4-byte Folded Spill
	ds_store_b128 v4, v[76:79] offset:96
	v_mul_u32_u24_e32 v4, 7, v208
                                        ; implicit-def: $vgpr68_vgpr69
                                        ; implicit-def: $vgpr64_vgpr65
	v_add_f64_e64 v[118:119], v[34:35], -v[120:121]
	v_add_f64_e32 v[116:117], v[32:33], v[122:123]
	v_add_f64_e64 v[32:33], v[32:33], -v[122:123]
	v_add_f64_e32 v[34:35], v[120:121], v[34:35]
	;; [unrolled: 2-line block ×3, first 2 shown]
	v_lshlrev_b32_e32 v4, 4, v4
	ds_store_b128 v4, v[0:3]
	ds_store_b128 v4, v[96:99] offset:16
	ds_store_b128 v4, v[88:91] offset:32
	;; [unrolled: 1-line block ×5, first 2 shown]
	v_add_co_u32 v0, s14, 0xdc, v181
	scratch_store_b32 off, v4, off offset:1268 ; 4-byte Folded Spill
	v_add_co_u32 v2, s0, s8, v220
	scratch_store_b32 off, v0, off offset:1740 ; 4-byte Folded Spill
	v_mul_u32_u24_e32 v0, 7, v0
	s_wait_alu 0xf1ff
	v_add_co_ci_u32_e64 v3, null, s9, 0, s0
	ds_store_b128 v4, v[100:103] offset:96
	scratch_store_b32 off, v181, off        ; 4-byte Folded Spill
	v_lshlrev_b32_e32 v1, 4, v0
	v_add_co_ci_u32_e64 v0, null, 0, 0, s13
	v_add_co_ci_u32_e64 v0, null, 0, 0, s14
	;; [unrolled: 1-line block ×3, first 2 shown]
	ds_store_b128 v1, v[12:15]
	ds_store_b128 v1, v[116:119] offset:16
	ds_store_b128 v1, v[112:115] offset:32
	;; [unrolled: 1-line block ×4, first 2 shown]
	s_clause 0x1
	scratch_store_b64 off, v[2:3], off offset:2108
	scratch_store_b32 off, v1, off offset:1200
	ds_store_b128 v1, v[232:235] offset:80
	ds_store_b128 v1, v[32:35] offset:96
	global_wb scope:SCOPE_SE
	s_wait_storecnt_dscnt 0x0
	s_wait_kmcnt 0x0
	s_barrier_signal -1
	s_barrier_wait -1
	global_inv scope:SCOPE_SE
	scratch_store_b32 off, v0, off offset:788 ; 4-byte Folded Spill
	ds_load_b128 v[28:31], v220
	ds_load_b128 v[24:27], v220 offset:880
	ds_load_b128 v[0:3], v220 offset:5600
	ds_load_b128 v[88:91], v220 offset:6480
	ds_load_b128 v[16:19], v220 offset:11200
	ds_load_b128 v[96:99], v220 offset:12080
	ds_load_b128 v[12:15], v220 offset:16800
	ds_load_b128 v[92:95], v220 offset:17680
	ds_load_b128 v[152:155], v220 offset:22400
	ds_load_b128 v[100:103], v220 offset:23280
	ds_load_b128 v[8:11], v220 offset:28000
	ds_load_b128 v[108:111], v220 offset:28880
	ds_load_b128 v[172:175], v220 offset:2800
	ds_load_b128 v[20:23], v220 offset:1760
	ds_load_b128 v[148:151], v220 offset:3680
	ds_load_b128 v[128:131], v220 offset:4560
	ds_load_b128 v[168:171], v220 offset:8400
	ds_load_b128 v[132:135], v220 offset:7360
	ds_load_b128 v[144:147], v220 offset:9280
	ds_load_b128 v[124:127], v220 offset:10160
	ds_load_b128 v[164:167], v220 offset:14000
	ds_load_b128 v[120:123], v220 offset:12960
	ds_load_b128 v[140:143], v220 offset:14880
	ds_load_b128 v[116:119], v220 offset:15760
	ds_load_b128 v[160:163], v220 offset:19600
	ds_load_b128 v[112:115], v220 offset:18560
	ds_load_b128 v[136:139], v220 offset:20480
	ds_load_b128 v[84:87], v220 offset:21360
	ds_load_b128 v[156:159], v220 offset:25200
	ds_load_b128 v[80:83], v220 offset:24160
	ds_load_b128 v[104:107], v220 offset:26080
	ds_load_b128 v[76:79], v220 offset:26960
	ds_load_b128 v[72:75], v220 offset:29760
	s_and_saveexec_b32 s0, vcc_lo
	s_cbranch_execz .LBB0_3
; %bb.2:
	ds_load_b128 v[232:235], v220 offset:2640
	ds_load_b128 v[32:35], v220 offset:5440
	;; [unrolled: 1-line block ×11, first 2 shown]
.LBB0_3:
	s_wait_alu 0xfffe
	s_or_b32 exec_lo, exec_lo, s0
	scratch_load_b32 v6, off, off           ; 4-byte Folded Reload
	s_mov_b32 s24, 0xbb3a28a1
	s_mov_b32 s25, 0xbfe82f19
	;; [unrolled: 1-line block ×21, first 2 shown]
	s_wait_alu 0xfffe
	s_mov_b32 s38, s26
	s_mov_b32 s37, 0x3fefac9e
	;; [unrolled: 1-line block ×7, first 2 shown]
	s_wait_loadcnt 0x0
	v_and_b32_e32 v4, 0xff, v6
	s_delay_alu instid0(VALU_DEP_1) | instskip(NEXT) | instid1(VALU_DEP_1)
	v_mul_lo_u16 v4, v4, 37
	v_lshrrev_b16 v4, 8, v4
	s_delay_alu instid0(VALU_DEP_1) | instskip(NEXT) | instid1(VALU_DEP_1)
	v_sub_nc_u16 v5, v6, v4
	v_lshrrev_b16 v5, 1, v5
	s_delay_alu instid0(VALU_DEP_1) | instskip(NEXT) | instid1(VALU_DEP_1)
	v_and_b32_e32 v5, 0x7f, v5
	v_add_nc_u16 v4, v5, v4
	s_delay_alu instid0(VALU_DEP_1) | instskip(SKIP_2) | instid1(VALU_DEP_1)
	v_lshrrev_b16 v4, 2, v4
	scratch_store_b32 off, v4, off offset:784 ; 4-byte Folded Spill
	v_mul_lo_u16 v4, v4, 7
	v_sub_nc_u16 v4, v6, v4
	s_delay_alu instid0(VALU_DEP_1) | instskip(SKIP_2) | instid1(VALU_DEP_1)
	v_and_b32_e32 v4, 0xff, v4
	scratch_store_b32 off, v4, off offset:820 ; 4-byte Folded Spill
	v_mul_u32_u24_e32 v4, 10, v4
	v_lshlrev_b32_e32 v4, 4, v4
	global_load_b128 v[178:181], v4, s[10:11]
	s_wait_loadcnt_dscnt 0x14
	v_mul_f64_e32 v[176:177], v[174:175], v[180:181]
	s_delay_alu instid0(VALU_DEP_1) | instskip(SKIP_1) | instid1(VALU_DEP_1)
	v_fma_f64 v[196:197], v[172:173], v[178:179], -v[176:177]
	v_mul_f64_e32 v[172:173], v[172:173], v[180:181]
	v_fma_f64 v[198:199], v[174:175], v[178:179], v[172:173]
	global_load_b128 v[174:177], v4, s[10:11] offset:16
	s_wait_loadcnt 0x0
	v_mul_f64_e32 v[172:173], v[2:3], v[176:177]
	scratch_store_b128 off, v[174:177], off offset:1820 ; 16-byte Folded Spill
	v_fma_f64 v[210:211], v[0:1], v[174:175], -v[172:173]
	v_mul_f64_e32 v[0:1], v[0:1], v[176:177]
	s_delay_alu instid0(VALU_DEP_1) | instskip(SKIP_2) | instid1(VALU_DEP_1)
	v_fma_f64 v[6:7], v[2:3], v[174:175], v[0:1]
	global_load_b128 v[172:175], v4, s[10:11] offset:32
	v_and_b32_e32 v0, 0xff, v182
	v_mul_lo_u16 v0, v0, 37
	s_delay_alu instid0(VALU_DEP_1) | instskip(NEXT) | instid1(VALU_DEP_1)
	v_lshrrev_b16 v0, 8, v0
	v_sub_nc_u16 v1, v182, v0
	s_delay_alu instid0(VALU_DEP_1) | instskip(NEXT) | instid1(VALU_DEP_1)
	v_lshrrev_b16 v1, 1, v1
	v_and_b32_e32 v1, 0x7f, v1
	s_delay_alu instid0(VALU_DEP_1) | instskip(NEXT) | instid1(VALU_DEP_1)
	v_add_nc_u16 v0, v1, v0
	v_lshrrev_b16 v0, 2, v0
	s_clause 0x1
	scratch_store_b128 off, v[178:181], off offset:1272
	scratch_store_b32 off, v0, off offset:836
	v_mul_lo_u16 v0, v0, 7
	s_delay_alu instid0(VALU_DEP_1) | instskip(NEXT) | instid1(VALU_DEP_1)
	v_sub_nc_u16 v0, v182, v0
	v_and_b32_e32 v0, 0xff, v0
	scratch_store_b32 off, v0, off offset:852 ; 4-byte Folded Spill
	v_mul_u32_u24_e32 v0, 10, v0
	s_delay_alu instid0(VALU_DEP_1) | instskip(SKIP_2) | instid1(VALU_DEP_1)
	v_lshlrev_b32_e32 v0, 4, v0
	s_wait_loadcnt_dscnt 0x10
	v_mul_f64_e32 v[2:3], v[170:171], v[174:175]
	v_fma_f64 v[252:253], v[168:169], v[172:173], -v[2:3]
	v_mul_f64_e32 v[2:3], v[168:169], v[174:175]
	s_delay_alu instid0(VALU_DEP_1) | instskip(SKIP_3) | instid1(VALU_DEP_1)
	v_fma_f64 v[221:222], v[170:171], v[172:173], v[2:3]
	global_load_b128 v[168:171], v4, s[10:11] offset:48
	s_wait_loadcnt 0x0
	v_mul_f64_e32 v[2:3], v[18:19], v[170:171]
	v_fma_f64 v[202:203], v[16:17], v[168:169], -v[2:3]
	v_mul_f64_e32 v[2:3], v[16:17], v[170:171]
	s_delay_alu instid0(VALU_DEP_1)
	v_fma_f64 v[236:237], v[18:19], v[168:169], v[2:3]
	global_load_b128 v[16:19], v4, s[10:11] offset:64
	s_wait_loadcnt_dscnt 0xc
	v_mul_f64_e32 v[2:3], v[166:167], v[18:19]
	scratch_store_b128 off, v[16:19], off offset:1772 ; 16-byte Folded Spill
	v_fma_f64 v[238:239], v[164:165], v[16:17], -v[2:3]
	v_mul_f64_e32 v[2:3], v[164:165], v[18:19]
	s_delay_alu instid0(VALU_DEP_1) | instskip(SKIP_3) | instid1(VALU_DEP_1)
	v_fma_f64 v[180:181], v[166:167], v[16:17], v[2:3]
	global_load_b128 v[16:19], v4, s[10:11] offset:80
	s_wait_loadcnt 0x0
	v_mul_f64_e32 v[2:3], v[14:15], v[18:19]
	v_fma_f64 v[164:165], v[12:13], v[16:17], -v[2:3]
	v_mul_f64_e32 v[2:3], v[12:13], v[18:19]
	s_delay_alu instid0(VALU_DEP_1)
	v_fma_f64 v[166:167], v[14:15], v[16:17], v[2:3]
	global_load_b128 v[12:15], v4, s[10:11] offset:96
	scratch_store_b128 off, v[168:171], off offset:1788 ; 16-byte Folded Spill
	s_wait_loadcnt 0x0
	scratch_store_b128 off, v[12:15], off offset:2028 ; 16-byte Folded Spill
	s_wait_dscnt 0x8
	v_mul_f64_e32 v[2:3], v[162:163], v[14:15]
	s_delay_alu instid0(VALU_DEP_1) | instskip(SKIP_1) | instid1(VALU_DEP_1)
	v_fma_f64 v[168:169], v[160:161], v[12:13], -v[2:3]
	v_mul_f64_e32 v[2:3], v[160:161], v[14:15]
	v_fma_f64 v[160:161], v[162:163], v[12:13], v[2:3]
	global_load_b128 v[12:15], v4, s[10:11] offset:112
	s_wait_loadcnt 0x0
	v_mul_f64_e32 v[2:3], v[154:155], v[14:15]
	scratch_store_b128 off, v[12:15], off offset:2012 ; 16-byte Folded Spill
	v_fma_f64 v[162:163], v[152:153], v[12:13], -v[2:3]
	v_mul_f64_e32 v[2:3], v[152:153], v[14:15]
	s_delay_alu instid0(VALU_DEP_1)
	v_fma_f64 v[152:153], v[154:155], v[12:13], v[2:3]
	global_load_b128 v[12:15], v4, s[10:11] offset:128
	v_add_f64_e32 v[254:255], v[221:222], v[152:153]
	s_wait_loadcnt_dscnt 0x4
	v_mul_f64_e32 v[2:3], v[158:159], v[14:15]
	scratch_store_b128 off, v[12:15], off offset:1964 ; 16-byte Folded Spill
	v_fma_f64 v[154:155], v[156:157], v[12:13], -v[2:3]
	v_mul_f64_e32 v[2:3], v[156:157], v[14:15]
	s_delay_alu instid0(VALU_DEP_1) | instskip(SKIP_3) | instid1(VALU_DEP_1)
	v_fma_f64 v[158:159], v[158:159], v[12:13], v[2:3]
	global_load_b128 v[12:15], v4, s[10:11] offset:144
	s_wait_loadcnt 0x0
	v_mul_f64_e32 v[2:3], v[10:11], v[14:15]
	v_fma_f64 v[156:157], v[8:9], v[12:13], -v[2:3]
	v_mul_f64_e32 v[2:3], v[8:9], v[14:15]
	s_delay_alu instid0(VALU_DEP_1)
	v_fma_f64 v[170:171], v[10:11], v[12:13], v[2:3]
	global_load_b128 v[8:11], v0, s[10:11]
	s_wait_loadcnt 0x0
	v_mul_f64_e32 v[2:3], v[150:151], v[10:11]
	scratch_store_b128 off, v[8:11], off offset:1996 ; 16-byte Folded Spill
	v_fma_f64 v[228:229], v[148:149], v[8:9], -v[2:3]
	v_mul_f64_e32 v[2:3], v[148:149], v[10:11]
	s_delay_alu instid0(VALU_DEP_1)
	v_fma_f64 v[230:231], v[150:151], v[8:9], v[2:3]
	global_load_b128 v[8:11], v0, s[10:11] offset:16
	s_wait_loadcnt 0x0
	v_mul_f64_e32 v[2:3], v[90:91], v[10:11]
	scratch_store_b128 off, v[8:11], off offset:1948 ; 16-byte Folded Spill
	v_fma_f64 v[148:149], v[88:89], v[8:9], -v[2:3]
	v_mul_f64_e32 v[2:3], v[88:89], v[10:11]
	s_delay_alu instid0(VALU_DEP_1)
	v_fma_f64 v[150:151], v[90:91], v[8:9], v[2:3]
	global_load_b128 v[8:11], v0, s[10:11] offset:32
	;; [unrolled: 8-line block ×3, first 2 shown]
	scratch_store_b32 off, v182, off offset:1436 ; 4-byte Folded Spill
	s_wait_loadcnt 0x0
	scratch_store_b128 off, v[8:11], off offset:1724 ; 16-byte Folded Spill
	v_mul_f64_e32 v[2:3], v[98:99], v[10:11]
	s_delay_alu instid0(VALU_DEP_1) | instskip(SKIP_1) | instid1(VALU_DEP_1)
	v_fma_f64 v[182:183], v[96:97], v[8:9], -v[2:3]
	v_mul_f64_e32 v[2:3], v[96:97], v[10:11]
	v_fma_f64 v[184:185], v[98:99], v[8:9], v[2:3]
	global_load_b128 v[8:11], v0, s[10:11] offset:64
	s_wait_loadcnt 0x0
	v_mul_f64_e32 v[2:3], v[142:143], v[10:11]
	scratch_store_b128 off, v[8:11], off offset:1852 ; 16-byte Folded Spill
	v_fma_f64 v[186:187], v[140:141], v[8:9], -v[2:3]
	v_mul_f64_e32 v[2:3], v[140:141], v[10:11]
	s_delay_alu instid0(VALU_DEP_1)
	v_fma_f64 v[188:189], v[142:143], v[8:9], v[2:3]
	global_load_b128 v[8:11], v0, s[10:11] offset:80
	s_wait_loadcnt 0x0
	v_mul_f64_e32 v[2:3], v[94:95], v[10:11]
	scratch_store_b128 off, v[8:11], off offset:1836 ; 16-byte Folded Spill
	v_fma_f64 v[190:191], v[92:93], v[8:9], -v[2:3]
	v_mul_f64_e32 v[2:3], v[92:93], v[10:11]
	s_delay_alu instid0(VALU_DEP_1)
	v_fma_f64 v[192:193], v[94:95], v[8:9], v[2:3]
	global_load_b128 v[8:11], v0, s[10:11] offset:96
	scratch_store_b128 off, v[172:175], off offset:1804 ; 16-byte Folded Spill
	s_wait_loadcnt 0x0
	scratch_store_b128 off, v[8:11], off offset:1292 ; 16-byte Folded Spill
	v_mul_f64_e32 v[2:3], v[138:139], v[10:11]
	s_delay_alu instid0(VALU_DEP_1) | instskip(SKIP_1) | instid1(VALU_DEP_1)
	v_fma_f64 v[194:195], v[136:137], v[8:9], -v[2:3]
	v_mul_f64_e32 v[2:3], v[136:137], v[10:11]
	v_fma_f64 v[136:137], v[138:139], v[8:9], v[2:3]
	global_load_b128 v[8:11], v0, s[10:11] offset:112
	s_wait_loadcnt 0x0
	v_mul_f64_e32 v[2:3], v[102:103], v[10:11]
	scratch_store_b128 off, v[8:11], off offset:1308 ; 16-byte Folded Spill
	v_fma_f64 v[138:139], v[100:101], v[8:9], -v[2:3]
	v_mul_f64_e32 v[2:3], v[100:101], v[10:11]
	s_delay_alu instid0(VALU_DEP_1)
	v_fma_f64 v[200:201], v[102:103], v[8:9], v[2:3]
	global_load_b128 v[8:11], v0, s[10:11] offset:128
	s_wait_loadcnt_dscnt 0x2
	v_mul_f64_e32 v[2:3], v[106:107], v[10:11]
	scratch_store_b128 off, v[8:11], off offset:1324 ; 16-byte Folded Spill
	v_fma_f64 v[172:173], v[104:105], v[8:9], -v[2:3]
	v_mul_f64_e32 v[2:3], v[104:105], v[10:11]
	s_delay_alu instid0(VALU_DEP_1) | instskip(SKIP_4) | instid1(VALU_DEP_1)
	v_fma_f64 v[174:175], v[106:107], v[8:9], v[2:3]
	global_load_b128 v[8:11], v0, s[10:11] offset:144
	v_and_b32_e32 v0, 0xff, v209
	scratch_store_b32 off, v0, off offset:804 ; 4-byte Folded Spill
	v_mul_lo_u16 v0, v0, 37
	v_lshrrev_b16 v0, 8, v0
	s_delay_alu instid0(VALU_DEP_1) | instskip(NEXT) | instid1(VALU_DEP_1)
	v_sub_nc_u16 v1, v209, v0
	v_lshrrev_b16 v1, 1, v1
	s_delay_alu instid0(VALU_DEP_1) | instskip(NEXT) | instid1(VALU_DEP_1)
	v_and_b32_e32 v1, 0x7f, v1
	v_add_nc_u16 v0, v1, v0
	s_delay_alu instid0(VALU_DEP_1) | instskip(SKIP_2) | instid1(VALU_DEP_1)
	v_lshrrev_b16 v0, 2, v0
	scratch_store_b32 off, v0, off offset:868 ; 4-byte Folded Spill
	v_mul_lo_u16 v0, v0, 7
	v_sub_nc_u16 v0, v209, v0
	s_delay_alu instid0(VALU_DEP_1) | instskip(SKIP_2) | instid1(VALU_DEP_1)
	v_and_b32_e32 v0, 0xff, v0
	scratch_store_b32 off, v0, off offset:904 ; 4-byte Folded Spill
	v_mul_u32_u24_e32 v0, 10, v0
	v_lshlrev_b32_e32 v0, 4, v0
	s_wait_loadcnt 0x0
	v_mul_f64_e32 v[2:3], v[110:111], v[10:11]
	scratch_store_b128 off, v[8:11], off offset:1344 ; 16-byte Folded Spill
	v_fma_f64 v[204:205], v[108:109], v[8:9], -v[2:3]
	v_mul_f64_e32 v[2:3], v[108:109], v[10:11]
	v_add_f64_e32 v[10:11], v[202:203], v[168:169]
	s_delay_alu instid0(VALU_DEP_2)
	v_fma_f64 v[206:207], v[110:111], v[8:9], v[2:3]
	global_load_b128 v[1:4], v0, s[10:11]
	s_wait_loadcnt 0x0
	v_mul_f64_e32 v[88:89], v[130:131], v[3:4]
	scratch_store_b128 off, v[1:4], off offset:1364 ; 16-byte Folded Spill
	v_fma_f64 v[140:141], v[128:129], v[1:2], -v[88:89]
	v_mul_f64_e32 v[88:89], v[128:129], v[3:4]
	s_delay_alu instid0(VALU_DEP_1)
	v_fma_f64 v[142:143], v[130:131], v[1:2], v[88:89]
	global_load_b128 v[1:4], v0, s[10:11] offset:16
	s_wait_loadcnt 0x0
	v_mul_f64_e32 v[88:89], v[134:135], v[3:4]
	scratch_store_b128 off, v[1:4], off offset:1452 ; 16-byte Folded Spill
	v_fma_f64 v[108:109], v[132:133], v[1:2], -v[88:89]
	v_mul_f64_e32 v[88:89], v[132:133], v[3:4]
	s_delay_alu instid0(VALU_DEP_1)
	v_fma_f64 v[110:111], v[134:135], v[1:2], v[88:89]
	global_load_b128 v[1:4], v0, s[10:11] offset:32
	;; [unrolled: 8-line block ×3, first 2 shown]
	v_add_f64_e32 v[126:127], v[230:231], v[206:207]
	s_wait_loadcnt 0x0
	v_mul_f64_e32 v[88:89], v[122:123], v[3:4]
	scratch_store_b128 off, v[1:4], off offset:1500 ; 16-byte Folded Spill
	v_fma_f64 v[96:97], v[120:121], v[1:2], -v[88:89]
	v_mul_f64_e32 v[88:89], v[120:121], v[3:4]
	s_delay_alu instid0(VALU_DEP_1)
	v_fma_f64 v[98:99], v[122:123], v[1:2], v[88:89]
	global_load_b128 v[1:4], v0, s[10:11] offset:64
	s_wait_loadcnt 0x0
	v_mul_f64_e32 v[88:89], v[118:119], v[3:4]
	v_mul_f64_e32 v[90:91], v[116:117], v[3:4]
	scratch_store_b128 off, v[1:4], off offset:1628 ; 16-byte Folded Spill
	v_fma_f64 v[8:9], v[116:117], v[1:2], -v[88:89]
	v_fma_f64 v[1:2], v[118:119], v[1:2], v[90:91]
	v_add_f64_e32 v[116:117], v[28:29], v[196:197]
	v_add_f64_e32 v[118:119], v[30:31], v[198:199]
	s_clause 0x2
	scratch_store_b64 off, v[8:9], off offset:4
	scratch_store_b64 off, v[1:2], off offset:20
	scratch_store_b32 off, v209, off offset:1548
	global_load_b128 v[1:4], v0, s[10:11] offset:80
	s_wait_loadcnt 0x0
	v_mul_f64_e32 v[92:93], v[114:115], v[3:4]
	v_mul_f64_e32 v[94:95], v[112:113], v[3:4]
	scratch_store_b128 off, v[1:4], off offset:1692 ; 16-byte Folded Spill
	v_fma_f64 v[92:93], v[112:113], v[1:2], -v[92:93]
	v_fma_f64 v[94:95], v[114:115], v[1:2], v[94:95]
	global_load_b128 v[1:4], v0, s[10:11] offset:96
	s_wait_loadcnt 0x0
	v_mul_f64_e32 v[100:101], v[86:87], v[3:4]
	scratch_store_b128 off, v[1:4], off offset:1644 ; 16-byte Folded Spill
	v_fma_f64 v[100:101], v[84:85], v[1:2], -v[100:101]
	v_mul_f64_e32 v[84:85], v[84:85], v[3:4]
	s_delay_alu instid0(VALU_DEP_1)
	v_fma_f64 v[104:105], v[86:87], v[1:2], v[84:85]
	global_load_b128 v[1:4], v0, s[10:11] offset:112
	s_wait_loadcnt 0x0
	v_mul_f64_e32 v[84:85], v[82:83], v[3:4]
	scratch_store_b128 off, v[1:4], off offset:1056 ; 16-byte Folded Spill
	v_fma_f64 v[128:129], v[80:81], v[1:2], -v[84:85]
	v_mul_f64_e32 v[80:81], v[80:81], v[3:4]
	s_delay_alu instid0(VALU_DEP_1)
	v_fma_f64 v[130:131], v[82:83], v[1:2], v[80:81]
	global_load_b128 v[1:4], v0, s[10:11] offset:128
	s_wait_loadcnt_dscnt 0x1
	v_mul_f64_e32 v[80:81], v[78:79], v[3:4]
	scratch_store_b128 off, v[1:4], off offset:1088 ; 16-byte Folded Spill
	v_fma_f64 v[132:133], v[76:77], v[1:2], -v[80:81]
	v_mul_f64_e32 v[76:77], v[76:77], v[3:4]
	s_delay_alu instid0(VALU_DEP_1)
	v_fma_f64 v[134:135], v[78:79], v[1:2], v[76:77]
	global_load_b128 v[0:3], v0, s[10:11] offset:144
	s_wait_loadcnt_dscnt 0x0
	v_mul_f64_e32 v[76:77], v[74:75], v[2:3]
	scratch_store_b128 off, v[0:3], off offset:1152 ; 16-byte Folded Spill
	v_fma_f64 v[224:225], v[72:73], v[0:1], -v[76:77]
	v_mul_f64_e32 v[72:73], v[72:73], v[2:3]
	s_delay_alu instid0(VALU_DEP_1) | instskip(SKIP_3) | instid1(VALU_DEP_1)
	v_fma_f64 v[226:227], v[74:75], v[0:1], v[72:73]
	v_and_b32_e32 v0, 0xff, v208
	scratch_store_b32 off, v0, off offset:920 ; 4-byte Folded Spill
	v_mul_lo_u16 v0, v0, 37
	v_lshrrev_b16 v0, 8, v0
	s_delay_alu instid0(VALU_DEP_1) | instskip(NEXT) | instid1(VALU_DEP_1)
	v_sub_nc_u16 v1, v208, v0
	v_lshrrev_b16 v1, 1, v1
	s_delay_alu instid0(VALU_DEP_1) | instskip(NEXT) | instid1(VALU_DEP_1)
	v_and_b32_e32 v1, 0x7f, v1
	v_add_nc_u16 v0, v1, v0
	s_delay_alu instid0(VALU_DEP_1) | instskip(SKIP_2) | instid1(VALU_DEP_1)
	v_lshrrev_b16 v0, 2, v0
	scratch_store_b32 off, v0, off offset:884 ; 4-byte Folded Spill
	v_mul_lo_u16 v0, v0, 7
	v_sub_nc_u16 v0, v208, v0
	s_delay_alu instid0(VALU_DEP_1)
	v_and_b32_e32 v0, 0xff, v0
	scratch_store_b128 off, v[12:15], off offset:1916 ; 16-byte Folded Spill
	v_add_f64_e64 v[12:13], v[202:203], -v[168:169]
	v_add_f64_e32 v[14:15], v[236:237], v[160:161]
	scratch_store_b32 off, v0, off offset:780 ; 4-byte Folded Spill
	v_mul_u32_u24_e32 v0, 10, v0
	s_delay_alu instid0(VALU_DEP_1)
	v_lshlrev_b32_e32 v0, 4, v0
	global_load_b128 v[1:4], v0, s[10:11]
	s_wait_loadcnt 0x0
	v_mul_f64_e32 v[72:73], v[34:35], v[3:4]
	scratch_store_b128 off, v[1:4], off offset:2252 ; 16-byte Folded Spill
	v_fma_f64 v[8:9], v[32:33], v[1:2], -v[72:73]
	v_mul_f64_e32 v[32:33], v[32:33], v[3:4]
	s_delay_alu instid0(VALU_DEP_1)
	v_fma_f64 v[1:2], v[34:35], v[1:2], v[32:33]
	s_clause 0x1
	scratch_store_b64 off, v[8:9], off offset:1048
	scratch_store_b64 off, v[1:2], off offset:1016
	global_load_b128 v[1:4], v0, s[10:11] offset:16
	s_wait_loadcnt 0x0
	v_mul_f64_e32 v[32:33], v[46:47], v[3:4]
	scratch_store_b128 off, v[1:4], off offset:2220 ; 16-byte Folded Spill
	v_fma_f64 v[8:9], v[44:45], v[1:2], -v[32:33]
	v_mul_f64_e32 v[32:33], v[44:45], v[3:4]
	s_delay_alu instid0(VALU_DEP_1)
	v_fma_f64 v[1:2], v[46:47], v[1:2], v[32:33]
	s_clause 0x1
	scratch_store_b64 off, v[8:9], off offset:1072
	scratch_store_b64 off, v[1:2], off offset:1184
	global_load_b128 v[1:4], v0, s[10:11] offset:32
	;; [unrolled: 11-line block ×5, first 2 shown]
	s_wait_loadcnt 0x0
	v_mul_f64_e32 v[32:33], v[42:43], v[3:4]
	scratch_store_b128 off, v[1:4], off offset:2188 ; 16-byte Folded Spill
	v_fma_f64 v[8:9], v[40:41], v[1:2], -v[32:33]
	v_mul_f64_e32 v[32:33], v[40:41], v[3:4]
	s_delay_alu instid0(VALU_DEP_1)
	v_fma_f64 v[1:2], v[42:43], v[1:2], v[32:33]
	scratch_store_b64 off, v[8:9], off offset:1204 ; 8-byte Folded Spill
	v_add_f64_e32 v[42:43], v[196:197], v[156:157]
	scratch_store_b64 off, v[1:2], off offset:1168 ; 8-byte Folded Spill
	global_load_b128 v[1:4], v0, s[10:11] offset:96
	s_wait_loadcnt 0x0
	v_mul_f64_e32 v[32:33], v[54:55], v[3:4]
	scratch_store_b128 off, v[1:4], off offset:2172 ; 16-byte Folded Spill
	v_fma_f64 v[8:9], v[52:53], v[1:2], -v[32:33]
	v_mul_f64_e32 v[32:33], v[52:53], v[3:4]
	s_delay_alu instid0(VALU_DEP_1)
	v_fma_f64 v[1:2], v[54:55], v[1:2], v[32:33]
	s_clause 0x1
	scratch_store_b64 off, v[8:9], off offset:1220
	scratch_store_b64 off, v[1:2], off offset:1236
	global_load_b128 v[1:4], v0, s[10:11] offset:112
	s_wait_loadcnt 0x0
	v_mul_f64_e32 v[32:33], v[66:67], v[3:4]
	scratch_store_b128 off, v[1:4], off offset:2156 ; 16-byte Folded Spill
	v_fma_f64 v[8:9], v[64:65], v[1:2], -v[32:33]
	v_mul_f64_e32 v[32:33], v[64:65], v[3:4]
	s_delay_alu instid0(VALU_DEP_1)
	v_fma_f64 v[1:2], v[66:67], v[1:2], v[32:33]
	s_clause 0x1
	scratch_store_b64 off, v[8:9], off offset:1252
	scratch_store_b64 off, v[1:2], off offset:1260
	global_load_b128 v[1:4], v0, s[10:11] offset:128
	s_wait_loadcnt 0x0
	v_mul_f64_e32 v[32:33], v[50:51], v[3:4]
	scratch_store_b128 off, v[1:4], off offset:2236 ; 16-byte Folded Spill
	v_fma_f64 v[8:9], v[48:49], v[1:2], -v[32:33]
	v_mul_f64_e32 v[32:33], v[48:49], v[3:4]
	s_delay_alu instid0(VALU_DEP_1)
	v_fma_f64 v[1:2], v[50:51], v[1:2], v[32:33]
	scratch_store_b128 off, v[16:19], off offset:1756 ; 16-byte Folded Spill
	v_mul_f64_e32 v[16:17], s[24:25], v[12:13]
	scratch_store_b64 off, v[1:2], off offset:196 ; 8-byte Folded Spill
	global_load_b128 v[0:3], v0, s[10:11] offset:144
	v_fma_f64 v[18:19], v[14:15], s[16:17], v[16:17]
	v_fma_f64 v[16:17], v[14:15], s[16:17], -v[16:17]
	s_wait_loadcnt 0x0
	v_mul_f64_e32 v[32:33], v[62:63], v[2:3]
	scratch_store_b128 off, v[0:3], off offset:2268 ; 16-byte Folded Spill
	v_fma_f64 v[4:5], v[60:61], v[0:1], -v[32:33]
	v_mul_f64_e32 v[32:33], v[60:61], v[2:3]
	v_add_f64_e64 v[2:3], v[238:239], -v[164:165]
	scratch_store_b64 off, v[4:5], off offset:148 ; 8-byte Folded Spill
	v_fma_f64 v[0:1], v[62:63], v[0:1], v[32:33]
	v_add_f64_e64 v[32:33], v[198:199], -v[170:171]
	v_add_f64_e32 v[62:63], v[198:199], v[170:171]
	scratch_store_b64 off, v[8:9], off offset:164 ; 8-byte Folded Spill
	v_add_f64_e64 v[8:9], v[236:237], -v[160:161]
	scratch_store_b32 off, v208, off offset:1612 ; 4-byte Folded Spill
	v_add_f64_e64 v[208:209], v[180:181], -v[166:167]
	v_mul_f64_e32 v[4:5], s[26:27], v[2:3]
	scratch_store_b64 off, v[0:1], off offset:180 ; 8-byte Folded Spill
	v_mul_f64_e32 v[40:41], s[24:25], v[32:33]
	v_mul_f64_e32 v[34:35], s[22:23], v[32:33]
	;; [unrolled: 1-line block ×6, first 2 shown]
	v_fma_f64 v[50:51], v[42:43], s[16:17], -v[40:41]
	v_fma_f64 v[52:53], v[42:43], s[16:17], v[40:41]
	v_add_f64_e64 v[40:41], v[196:197], -v[156:157]
	v_fma_f64 v[44:45], v[42:43], s[0:1], -v[34:35]
	v_fma_f64 v[34:35], v[42:43], s[0:1], v[34:35]
	v_fma_f64 v[46:47], v[42:43], s[12:13], -v[36:37]
	v_fma_f64 v[36:37], v[42:43], s[12:13], v[36:37]
	;; [unrolled: 2-line block ×4, first 2 shown]
	v_add_f64_e32 v[50:51], v[28:29], v[50:51]
	v_add_f64_e32 v[52:53], v[28:29], v[52:53]
	v_mul_f64_e32 v[42:43], s[22:23], v[40:41]
	v_mul_f64_e32 v[54:55], s[28:29], v[40:41]
	;; [unrolled: 1-line block ×5, first 2 shown]
	v_add_f64_e32 v[44:45], v[28:29], v[44:45]
	v_add_f64_e32 v[34:35], v[28:29], v[34:35]
	;; [unrolled: 1-line block ×7, first 2 shown]
	v_fma_f64 v[64:65], v[62:63], s[0:1], v[42:43]
	v_fma_f64 v[42:43], v[62:63], s[0:1], -v[42:43]
	v_fma_f64 v[66:67], v[62:63], s[12:13], v[54:55]
	v_fma_f64 v[54:55], v[62:63], s[12:13], -v[54:55]
	;; [unrolled: 2-line block ×5, first 2 shown]
	v_add_f64_e32 v[64:65], v[30:31], v[64:65]
	v_add_f64_e32 v[74:75], v[30:31], v[42:43]
	;; [unrolled: 1-line block ×3, first 2 shown]
	v_add_f64_e64 v[28:29], v[230:231], -v[206:207]
	v_add_f64_e32 v[66:67], v[30:31], v[66:67]
	v_add_f64_e32 v[78:79], v[30:31], v[54:55]
	;; [unrolled: 1-line block ×9, first 2 shown]
	v_dual_mov_b32 v60, v210 :: v_dual_mov_b32 v61, v211
	v_dual_mov_b32 v55, v7 :: v_dual_mov_b32 v54, v6
	;; [unrolled: 1-line block ×3, first 2 shown]
	v_add_f64_e32 v[210:211], v[238:239], v[164:165]
	s_delay_alu instid0(VALU_DEP_2)
	v_add_f64_e64 v[252:253], v[6:7], -v[162:163]
	v_mul_f64_e32 v[30:31], s[22:23], v[28:29]
	v_mul_f64_e32 v[32:33], s[28:29], v[28:29]
	v_mul_f64_e32 v[36:37], s[20:21], v[28:29]
	v_mul_f64_e32 v[38:39], s[24:25], v[28:29]
	v_mul_f64_e32 v[28:29], s[26:27], v[28:29]
	v_fma_f64 v[72:73], v[70:71], s[0:1], -v[30:31]
	v_fma_f64 v[30:31], v[70:71], s[0:1], v[30:31]
	v_fma_f64 v[80:81], v[70:71], s[12:13], -v[32:33]
	v_fma_f64 v[32:33], v[70:71], s[12:13], v[32:33]
	;; [unrolled: 2-line block ×5, first 2 shown]
	v_add_f64_e64 v[70:71], v[228:229], -v[204:205]
	v_add_f64_e32 v[72:73], v[24:25], v[72:73]
	v_add_f64_e32 v[218:219], v[24:25], v[30:31]
	;; [unrolled: 1-line block ×6, first 2 shown]
	v_mul_f64_e32 v[112:113], s[22:23], v[70:71]
	v_mul_f64_e32 v[122:123], s[24:25], v[70:71]
	;; [unrolled: 1-line block ×5, first 2 shown]
	v_fma_f64 v[144:145], v[126:127], s[0:1], v[112:113]
	v_fma_f64 v[112:113], v[126:127], s[0:1], -v[112:113]
	v_fma_f64 v[212:213], v[126:127], s[16:17], v[122:123]
	v_fma_f64 v[214:215], v[126:127], s[16:17], -v[122:123]
	;; [unrolled: 2-line block ×4, first 2 shown]
	v_add_f64_e32 v[120:121], v[24:25], v[228:229]
	v_fma_f64 v[146:147], v[126:127], s[12:13], v[114:115]
	v_fma_f64 v[114:115], v[126:127], s[12:13], -v[114:115]
	v_add_f64_e32 v[122:123], v[26:27], v[230:231]
	v_add_f64_e32 v[230:231], v[24:25], v[38:39]
	;; [unrolled: 1-line block ×3, first 2 shown]
	v_mul_f64_e32 v[38:39], s[20:21], v[252:253]
	v_add_f64_e32 v[144:145], v[26:27], v[144:145]
	v_add_f64_e32 v[240:241], v[26:27], v[112:113]
	;; [unrolled: 1-line block ×3, first 2 shown]
	v_add_f64_e64 v[212:213], v[60:61], -v[154:155]
	v_add_f64_e32 v[228:229], v[26:27], v[214:215]
	v_add_f64_e32 v[214:215], v[54:55], v[158:159]
	;; [unrolled: 1-line block ×6, first 2 shown]
	v_add_f64_e64 v[70:71], v[54:55], -v[158:159]
	v_add_f64_e32 v[246:247], v[26:27], v[114:115]
	v_add_f64_e32 v[114:115], v[24:25], v[86:87]
	;; [unrolled: 1-line block ×6, first 2 shown]
	v_mul_f64_e32 v[32:33], s[28:29], v[212:213]
	v_mul_f64_e32 v[24:25], s[28:29], v[70:71]
	s_delay_alu instid0(VALU_DEP_2) | instskip(NEXT) | instid1(VALU_DEP_2)
	v_fma_f64 v[28:29], v[214:215], s[12:13], v[32:33]
	v_fma_f64 v[26:27], v[86:87], s[12:13], -v[24:25]
	s_delay_alu instid0(VALU_DEP_2) | instskip(SKIP_1) | instid1(VALU_DEP_3)
	v_add_f64_e32 v[28:29], v[28:29], v[64:65]
	v_add_f64_e64 v[64:65], v[221:222], -v[152:153]
	v_add_f64_e32 v[26:27], v[26:27], v[44:45]
	v_mul_f64_e32 v[44:45], s[24:25], v[8:9]
	s_delay_alu instid0(VALU_DEP_3) | instskip(NEXT) | instid1(VALU_DEP_1)
	v_mul_f64_e32 v[36:37], s[20:21], v[64:65]
	v_fma_f64 v[30:31], v[216:217], s[14:15], -v[36:37]
	s_delay_alu instid0(VALU_DEP_1) | instskip(SKIP_1) | instid1(VALU_DEP_1)
	v_add_f64_e32 v[26:27], v[30:31], v[26:27]
	v_fma_f64 v[30:31], v[254:255], s[14:15], v[38:39]
	v_add_f64_e32 v[28:29], v[30:31], v[28:29]
	v_fma_f64 v[30:31], v[10:11], s[16:17], -v[44:45]
	s_delay_alu instid0(VALU_DEP_2) | instskip(NEXT) | instid1(VALU_DEP_2)
	v_add_f64_e32 v[18:19], v[18:19], v[28:29]
	v_add_f64_e32 v[26:27], v[30:31], v[26:27]
	v_fma_f64 v[28:29], v[210:211], s[18:19], -v[0:1]
	v_fma_f64 v[0:1], v[210:211], s[18:19], v[0:1]
	s_delay_alu instid0(VALU_DEP_2) | instskip(SKIP_1) | instid1(VALU_DEP_1)
	v_add_f64_e32 v[28:29], v[28:29], v[26:27]
	v_add_f64_e32 v[26:27], v[180:181], v[166:167]
	v_fma_f64 v[30:31], v[26:27], s[18:19], v[4:5]
	v_fma_f64 v[4:5], v[26:27], s[18:19], -v[4:5]
	s_delay_alu instid0(VALU_DEP_2) | instskip(SKIP_3) | instid1(VALU_DEP_3)
	v_add_f64_e32 v[30:31], v[30:31], v[18:19]
	v_fma_f64 v[18:19], v[86:87], s[12:13], v[24:25]
	v_fma_f64 v[24:25], v[214:215], s[12:13], -v[32:33]
	v_fma_f64 v[32:33], v[216:217], s[14:15], v[36:37]
	v_add_f64_e32 v[18:19], v[18:19], v[34:35]
	s_delay_alu instid0(VALU_DEP_3) | instskip(SKIP_2) | instid1(VALU_DEP_4)
	v_add_f64_e32 v[24:25], v[24:25], v[74:75]
	v_mul_f64_e32 v[34:35], s[38:39], v[64:65]
	v_mul_f64_e32 v[74:75], s[30:31], v[208:209]
	v_add_f64_e32 v[18:19], v[32:33], v[18:19]
	v_fma_f64 v[32:33], v[254:255], s[14:15], -v[38:39]
	s_delay_alu instid0(VALU_DEP_4) | instskip(NEXT) | instid1(VALU_DEP_2)
	v_fma_f64 v[36:37], v[216:217], s[18:19], -v[34:35]
	v_add_f64_e32 v[24:25], v[32:33], v[24:25]
	v_fma_f64 v[32:33], v[10:11], s[16:17], v[44:45]
	v_mul_f64_e32 v[44:45], s[38:39], v[252:253]
	s_delay_alu instid0(VALU_DEP_3) | instskip(NEXT) | instid1(VALU_DEP_3)
	v_add_f64_e32 v[24:25], v[16:17], v[24:25]
	v_add_f64_e32 v[18:19], v[32:33], v[18:19]
	s_delay_alu instid0(VALU_DEP_1) | instskip(SKIP_1) | instid1(VALU_DEP_4)
	v_add_f64_e32 v[16:17], v[0:1], v[18:19]
	v_mul_f64_e32 v[0:1], s[24:25], v[70:71]
	v_add_f64_e32 v[18:19], v[4:5], v[24:25]
	v_mul_f64_e32 v[24:25], s[24:25], v[212:213]
	scratch_store_b128 off, v[28:31], off offset:984 ; 16-byte Folded Spill
	v_fma_f64 v[4:5], v[86:87], s[16:17], -v[0:1]
	scratch_store_b128 off, v[16:19], off offset:968 ; 16-byte Folded Spill
	v_fma_f64 v[32:33], v[214:215], s[16:17], v[24:25]
	v_fma_f64 v[0:1], v[86:87], s[16:17], v[0:1]
	v_fma_f64 v[24:25], v[214:215], s[16:17], -v[24:25]
	v_add_f64_e32 v[4:5], v[4:5], v[46:47]
	v_mul_f64_e32 v[46:47], s[36:37], v[8:9]
	v_add_f64_e32 v[32:33], v[32:33], v[66:67]
	v_mul_f64_e32 v[66:67], s[36:37], v[12:13]
	v_add_f64_e32 v[0:1], v[0:1], v[76:77]
	v_add_f64_e32 v[24:25], v[24:25], v[78:79]
	v_mul_f64_e32 v[76:77], s[22:23], v[12:13]
	v_mul_f64_e32 v[78:79], s[24:25], v[208:209]
	v_add_f64_e32 v[4:5], v[36:37], v[4:5]
	v_fma_f64 v[36:37], v[254:255], s[18:19], v[44:45]
	s_delay_alu instid0(VALU_DEP_1) | instskip(SKIP_1) | instid1(VALU_DEP_1)
	v_add_f64_e32 v[32:33], v[36:37], v[32:33]
	v_fma_f64 v[36:37], v[10:11], s[14:15], -v[46:47]
	v_add_f64_e32 v[4:5], v[36:37], v[4:5]
	v_fma_f64 v[36:37], v[14:15], s[14:15], v[66:67]
	s_delay_alu instid0(VALU_DEP_1) | instskip(SKIP_1) | instid1(VALU_DEP_1)
	v_add_f64_e32 v[32:33], v[36:37], v[32:33]
	v_fma_f64 v[36:37], v[210:211], s[0:1], -v[74:75]
	v_add_f64_e32 v[36:37], v[36:37], v[4:5]
	v_mul_f64_e32 v[4:5], s[30:31], v[2:3]
	s_delay_alu instid0(VALU_DEP_1) | instskip(SKIP_1) | instid1(VALU_DEP_2)
	v_fma_f64 v[38:39], v[26:27], s[0:1], v[4:5]
	v_fma_f64 v[4:5], v[26:27], s[0:1], -v[4:5]
	v_add_f64_e32 v[38:39], v[38:39], v[32:33]
	v_fma_f64 v[32:33], v[216:217], s[18:19], v[34:35]
	s_delay_alu instid0(VALU_DEP_1) | instskip(SKIP_1) | instid1(VALU_DEP_1)
	v_add_f64_e32 v[0:1], v[32:33], v[0:1]
	v_fma_f64 v[32:33], v[254:255], s[18:19], -v[44:45]
	v_add_f64_e32 v[24:25], v[32:33], v[24:25]
	v_fma_f64 v[32:33], v[10:11], s[14:15], v[46:47]
	s_delay_alu instid0(VALU_DEP_1) | instskip(SKIP_2) | instid1(VALU_DEP_2)
	v_add_f64_e32 v[0:1], v[32:33], v[0:1]
	v_fma_f64 v[32:33], v[14:15], s[14:15], -v[66:67]
	v_mul_f64_e32 v[66:67], s[34:35], v[64:65]
	v_add_f64_e32 v[24:25], v[32:33], v[24:25]
	v_fma_f64 v[32:33], v[210:211], s[0:1], v[74:75]
	s_delay_alu instid0(VALU_DEP_3) | instskip(SKIP_1) | instid1(VALU_DEP_4)
	v_fma_f64 v[46:47], v[216:217], s[12:13], -v[66:67]
	v_mul_f64_e32 v[74:75], s[22:23], v[8:9]
	v_add_f64_e32 v[18:19], v[4:5], v[24:25]
	s_delay_alu instid0(VALU_DEP_4)
	v_add_f64_e32 v[16:17], v[32:33], v[0:1]
	v_mul_f64_e32 v[0:1], s[38:39], v[70:71]
	v_mul_f64_e32 v[24:25], s[38:39], v[212:213]
	scratch_store_b128 off, v[16:19], off offset:1000 ; 16-byte Folded Spill
	v_fma_f64 v[4:5], v[86:87], s[18:19], -v[0:1]
	v_fma_f64 v[44:45], v[214:215], s[18:19], v[24:25]
	v_fma_f64 v[0:1], v[86:87], s[18:19], v[0:1]
	v_fma_f64 v[24:25], v[214:215], s[18:19], -v[24:25]
	scratch_load_b64 v[16:17], off, off offset:4 th:TH_LOAD_LU ; 8-byte Folded Reload
	v_add_f64_e32 v[4:5], v[4:5], v[84:85]
	v_add_f64_e32 v[44:45], v[44:45], v[68:69]
	v_mul_f64_e32 v[68:69], s[34:35], v[252:253]
	v_add_f64_e32 v[0:1], v[0:1], v[42:43]
	v_add_f64_e32 v[24:25], v[24:25], v[40:41]
	v_fma_f64 v[40:41], v[216:217], s[12:13], v[66:67]
	v_mul_f64_e32 v[66:67], s[22:23], v[64:65]
	v_mul_f64_e32 v[64:65], s[24:25], v[64:65]
	v_add_f64_e32 v[4:5], v[46:47], v[4:5]
	v_fma_f64 v[46:47], v[254:255], s[12:13], v[68:69]
	v_add_f64_e32 v[0:1], v[40:41], v[0:1]
	v_fma_f64 v[40:41], v[254:255], s[12:13], -v[68:69]
	v_mul_f64_e32 v[68:69], s[22:23], v[252:253]
	s_delay_alu instid0(VALU_DEP_4) | instskip(SKIP_1) | instid1(VALU_DEP_4)
	v_add_f64_e32 v[44:45], v[46:47], v[44:45]
	v_fma_f64 v[46:47], v[10:11], s[0:1], -v[74:75]
	v_add_f64_e32 v[24:25], v[40:41], v[24:25]
	v_fma_f64 v[40:41], v[10:11], s[0:1], v[74:75]
	v_mul_f64_e32 v[74:75], s[26:27], v[8:9]
	v_mul_f64_e32 v[8:9], s[34:35], v[8:9]
	v_add_f64_e32 v[4:5], v[46:47], v[4:5]
	v_fma_f64 v[46:47], v[14:15], s[0:1], v[76:77]
	v_add_f64_e32 v[0:1], v[40:41], v[0:1]
	v_fma_f64 v[40:41], v[14:15], s[0:1], -v[76:77]
	v_mul_f64_e32 v[76:77], s[26:27], v[12:13]
	v_mul_f64_e32 v[12:13], s[34:35], v[12:13]
	v_add_f64_e32 v[46:47], v[46:47], v[44:45]
	v_fma_f64 v[44:45], v[210:211], s[16:17], -v[78:79]
	v_add_f64_e32 v[24:25], v[40:41], v[24:25]
	v_fma_f64 v[40:41], v[210:211], s[16:17], v[78:79]
	v_mul_f64_e32 v[78:79], s[34:35], v[208:209]
	s_delay_alu instid0(VALU_DEP_4) | instskip(SKIP_1) | instid1(VALU_DEP_4)
	v_add_f64_e32 v[44:45], v[44:45], v[4:5]
	v_mul_f64_e32 v[4:5], s[24:25], v[2:3]
	v_add_f64_e32 v[40:41], v[40:41], v[0:1]
	v_mul_f64_e32 v[0:1], s[36:37], v[70:71]
	s_delay_alu instid0(VALU_DEP_3) | instskip(SKIP_1) | instid1(VALU_DEP_2)
	v_fma_f64 v[84:85], v[26:27], s[16:17], v[4:5]
	v_fma_f64 v[4:5], v[26:27], s[16:17], -v[4:5]
	v_add_f64_e32 v[46:47], v[84:85], v[46:47]
	s_delay_alu instid0(VALU_DEP_2) | instskip(SKIP_3) | instid1(VALU_DEP_3)
	v_add_f64_e32 v[42:43], v[4:5], v[24:25]
	v_fma_f64 v[4:5], v[86:87], s[14:15], -v[0:1]
	v_mul_f64_e32 v[24:25], s[36:37], v[212:213]
	v_fma_f64 v[0:1], v[86:87], s[14:15], v[0:1]
	v_add_f64_e32 v[4:5], v[4:5], v[50:51]
	s_delay_alu instid0(VALU_DEP_3) | instskip(NEXT) | instid1(VALU_DEP_3)
	v_fma_f64 v[50:51], v[214:215], s[14:15], v[24:25]
	v_add_f64_e32 v[0:1], v[0:1], v[52:53]
	v_fma_f64 v[24:25], v[214:215], s[14:15], -v[24:25]
	v_fma_f64 v[52:53], v[216:217], s[0:1], v[66:67]
	s_delay_alu instid0(VALU_DEP_4) | instskip(SKIP_1) | instid1(VALU_DEP_4)
	v_add_f64_e32 v[48:49], v[50:51], v[48:49]
	v_fma_f64 v[50:51], v[216:217], s[0:1], -v[66:67]
	v_add_f64_e32 v[24:25], v[24:25], v[58:59]
	s_delay_alu instid0(VALU_DEP_4)
	v_add_f64_e32 v[0:1], v[52:53], v[0:1]
	v_fma_f64 v[52:53], v[254:255], s[0:1], -v[68:69]
	v_mul_f64_e32 v[66:67], s[24:25], v[252:253]
	v_add_f64_e64 v[252:253], v[182:183], -v[194:195]
	v_add_f64_e32 v[4:5], v[50:51], v[4:5]
	v_fma_f64 v[50:51], v[254:255], s[0:1], v[68:69]
	v_mul_f64_e32 v[68:69], s[20:21], v[208:209]
	v_add_f64_e32 v[24:25], v[52:53], v[24:25]
	v_fma_f64 v[52:53], v[10:11], s[18:19], v[74:75]
	v_add_f64_e32 v[208:209], v[176:177], v[138:139]
	v_add_f64_e32 v[48:49], v[50:51], v[48:49]
	v_fma_f64 v[50:51], v[10:11], s[18:19], -v[74:75]
	v_mul_f64_e32 v[74:75], s[24:25], v[252:253]
	v_add_f64_e32 v[0:1], v[52:53], v[0:1]
	v_fma_f64 v[52:53], v[14:15], s[18:19], -v[76:77]
	s_delay_alu instid0(VALU_DEP_4) | instskip(SKIP_2) | instid1(VALU_DEP_4)
	v_add_f64_e32 v[4:5], v[50:51], v[4:5]
	v_fma_f64 v[50:51], v[14:15], s[18:19], v[76:77]
	v_add_f64_e64 v[76:77], v[188:189], -v[192:193]
	v_add_f64_e32 v[24:25], v[52:53], v[24:25]
	v_fma_f64 v[52:53], v[210:211], s[12:13], v[78:79]
	s_delay_alu instid0(VALU_DEP_4) | instskip(SKIP_2) | instid1(VALU_DEP_4)
	v_add_f64_e32 v[50:51], v[50:51], v[48:49]
	v_fma_f64 v[48:49], v[210:211], s[12:13], -v[78:79]
	v_add_f64_e32 v[78:79], v[186:187], v[190:191]
	v_add_f64_e32 v[32:33], v[52:53], v[0:1]
	v_mul_f64_e32 v[0:1], s[30:31], v[70:71]
	s_delay_alu instid0(VALU_DEP_4) | instskip(SKIP_2) | instid1(VALU_DEP_2)
	v_add_f64_e32 v[48:49], v[48:49], v[4:5]
	v_mul_f64_e32 v[4:5], s[34:35], v[2:3]
	v_mul_f64_e32 v[2:3], s[20:21], v[2:3]
	v_fma_f64 v[84:85], v[26:27], s[12:13], v[4:5]
	v_fma_f64 v[4:5], v[26:27], s[12:13], -v[4:5]
	s_delay_alu instid0(VALU_DEP_2) | instskip(NEXT) | instid1(VALU_DEP_2)
	v_add_f64_e32 v[50:51], v[84:85], v[50:51]
	v_add_f64_e32 v[34:35], v[4:5], v[24:25]
	v_mul_f64_e32 v[24:25], s[30:31], v[212:213]
	v_fma_f64 v[4:5], v[86:87], s[0:1], -v[0:1]
	v_fma_f64 v[0:1], v[86:87], s[0:1], v[0:1]
	v_add_f64_e32 v[212:213], v[178:179], v[200:201]
	v_mul_f64_e32 v[84:85], s[26:27], v[76:77]
	v_add_f64_e32 v[86:87], v[188:189], v[192:193]
	v_fma_f64 v[58:59], v[214:215], s[0:1], v[24:25]
	v_add_f64_e32 v[4:5], v[4:5], v[56:57]
	v_add_f64_e32 v[0:1], v[0:1], v[90:91]
	s_delay_alu instid0(VALU_DEP_3) | instskip(SKIP_1) | instid1(VALU_DEP_1)
	v_add_f64_e32 v[56:57], v[58:59], v[88:89]
	v_fma_f64 v[58:59], v[216:217], s[16:17], -v[64:65]
	v_add_f64_e32 v[4:5], v[58:59], v[4:5]
	v_fma_f64 v[58:59], v[254:255], s[16:17], v[66:67]
	s_delay_alu instid0(VALU_DEP_1) | instskip(SKIP_3) | instid1(VALU_DEP_3)
	v_add_f64_e32 v[56:57], v[58:59], v[56:57]
	v_fma_f64 v[58:59], v[10:11], s[12:13], -v[8:9]
	v_fma_f64 v[8:9], v[10:11], s[12:13], v[8:9]
	v_fma_f64 v[10:11], v[14:15], s[12:13], -v[12:13]
	v_add_f64_e32 v[4:5], v[58:59], v[4:5]
	v_fma_f64 v[58:59], v[14:15], s[12:13], v[12:13]
	v_fma_f64 v[12:13], v[210:211], s[14:15], v[68:69]
	s_delay_alu instid0(VALU_DEP_2) | instskip(SKIP_2) | instid1(VALU_DEP_2)
	v_add_f64_e32 v[58:59], v[58:59], v[56:57]
	v_fma_f64 v[56:57], v[210:211], s[14:15], -v[68:69]
	v_add_f64_e64 v[210:211], v[176:177], -v[138:139]
	v_add_f64_e32 v[56:57], v[56:57], v[4:5]
	v_fma_f64 v[4:5], v[26:27], s[14:15], v[2:3]
	v_fma_f64 v[2:3], v[26:27], s[14:15], -v[2:3]
	v_add_f64_e64 v[26:27], v[178:179], -v[200:201]
	s_delay_alu instid0(VALU_DEP_3)
	v_add_f64_e32 v[58:59], v[4:5], v[58:59]
	v_fma_f64 v[4:5], v[214:215], s[0:1], -v[24:25]
	v_fma_f64 v[24:25], v[216:217], s[16:17], v[64:65]
	v_fma_f64 v[64:65], v[254:255], s[16:17], -v[66:67]
	v_add_f64_e64 v[214:215], v[184:185], -v[136:137]
	v_add_f64_e32 v[216:217], v[182:183], v[194:195]
	v_add_f64_e32 v[254:255], v[184:185], v[136:137]
	v_add_f64_e32 v[4:5], v[4:5], v[62:63]
	v_add_f64_e32 v[0:1], v[24:25], v[0:1]
	s_delay_alu instid0(VALU_DEP_2) | instskip(NEXT) | instid1(VALU_DEP_2)
	v_add_f64_e32 v[4:5], v[64:65], v[4:5]
	v_add_f64_e32 v[0:1], v[8:9], v[0:1]
	v_mul_f64_e32 v[64:65], s[20:21], v[26:27]
	s_delay_alu instid0(VALU_DEP_3) | instskip(NEXT) | instid1(VALU_DEP_3)
	v_add_f64_e32 v[4:5], v[10:11], v[4:5]
	v_add_f64_e32 v[28:29], v[12:13], v[0:1]
	v_add_f64_e64 v[0:1], v[150:151], -v[174:175]
	v_add_f64_e64 v[10:11], v[148:149], -v[172:173]
	v_add_f64_e32 v[12:13], v[150:151], v[174:175]
	v_fma_f64 v[66:67], v[208:209], s[14:15], -v[64:65]
	v_add_f64_e32 v[30:31], v[2:3], v[4:5]
	v_add_f64_e32 v[2:3], v[148:149], v[172:173]
	v_mul_f64_e32 v[4:5], s[28:29], v[0:1]
	v_mul_f64_e32 v[14:15], s[28:29], v[10:11]
	s_delay_alu instid0(VALU_DEP_2) | instskip(NEXT) | instid1(VALU_DEP_2)
	v_fma_f64 v[8:9], v[2:3], s[12:13], -v[4:5]
	v_fma_f64 v[24:25], v[12:13], s[12:13], v[14:15]
	v_fma_f64 v[4:5], v[2:3], s[12:13], v[4:5]
	v_fma_f64 v[14:15], v[12:13], s[12:13], -v[14:15]
	s_delay_alu instid0(VALU_DEP_4) | instskip(NEXT) | instid1(VALU_DEP_4)
	v_add_f64_e32 v[8:9], v[8:9], v[72:73]
	v_add_f64_e32 v[24:25], v[24:25], v[144:145]
	v_mul_f64_e32 v[72:73], s[24:25], v[214:215]
	v_add_f64_e32 v[4:5], v[4:5], v[218:219]
	v_add_f64_e32 v[14:15], v[14:15], v[240:241]
	;; [unrolled: 1-line block ×3, first 2 shown]
	v_mul_f64_e32 v[66:67], s[20:21], v[210:211]
	s_delay_alu instid0(VALU_DEP_1) | instskip(NEXT) | instid1(VALU_DEP_1)
	v_fma_f64 v[68:69], v[212:213], s[14:15], v[66:67]
	v_add_f64_e32 v[24:25], v[68:69], v[24:25]
	v_fma_f64 v[68:69], v[216:217], s[16:17], -v[72:73]
	s_delay_alu instid0(VALU_DEP_1) | instskip(SKIP_1) | instid1(VALU_DEP_1)
	v_add_f64_e32 v[8:9], v[68:69], v[8:9]
	v_fma_f64 v[68:69], v[254:255], s[16:17], v[74:75]
	v_add_f64_e32 v[24:25], v[68:69], v[24:25]
	v_fma_f64 v[68:69], v[78:79], s[18:19], -v[84:85]
	s_delay_alu instid0(VALU_DEP_1) | instskip(SKIP_1) | instid1(VALU_DEP_1)
	v_add_f64_e32 v[68:69], v[68:69], v[8:9]
	v_add_f64_e64 v[8:9], v[186:187], -v[190:191]
	v_mul_f64_e32 v[144:145], s[26:27], v[8:9]
	s_delay_alu instid0(VALU_DEP_1) | instskip(NEXT) | instid1(VALU_DEP_1)
	v_fma_f64 v[70:71], v[86:87], s[18:19], v[144:145]
	v_add_f64_e32 v[70:71], v[70:71], v[24:25]
	v_fma_f64 v[24:25], v[208:209], s[14:15], v[64:65]
	s_delay_alu instid0(VALU_DEP_1) | instskip(SKIP_2) | instid1(VALU_DEP_2)
	v_add_f64_e32 v[4:5], v[24:25], v[4:5]
	v_fma_f64 v[24:25], v[212:213], s[14:15], -v[66:67]
	v_fma_f64 v[66:67], v[86:87], s[18:19], -v[144:145]
	v_add_f64_e32 v[14:15], v[24:25], v[14:15]
	v_fma_f64 v[24:25], v[216:217], s[16:17], v[72:73]
	s_delay_alu instid0(VALU_DEP_1) | instskip(SKIP_2) | instid1(VALU_DEP_2)
	v_add_f64_e32 v[4:5], v[24:25], v[4:5]
	v_fma_f64 v[24:25], v[254:255], s[16:17], -v[74:75]
	v_mul_f64_e32 v[74:75], s[38:39], v[26:27]
	v_add_f64_e32 v[14:15], v[24:25], v[14:15]
	v_fma_f64 v[24:25], v[78:79], s[18:19], v[84:85]
	s_delay_alu instid0(VALU_DEP_3) | instskip(NEXT) | instid1(VALU_DEP_3)
	v_fma_f64 v[84:85], v[208:209], s[18:19], -v[74:75]
	v_add_f64_e32 v[66:67], v[66:67], v[14:15]
	s_delay_alu instid0(VALU_DEP_3) | instskip(SKIP_2) | instid1(VALU_DEP_2)
	v_add_f64_e32 v[64:65], v[24:25], v[4:5]
	v_mul_f64_e32 v[4:5], s[24:25], v[0:1]
	v_mul_f64_e32 v[24:25], s[24:25], v[10:11]
	v_fma_f64 v[14:15], v[2:3], s[16:17], -v[4:5]
	s_delay_alu instid0(VALU_DEP_2) | instskip(SKIP_2) | instid1(VALU_DEP_4)
	v_fma_f64 v[72:73], v[12:13], s[16:17], v[24:25]
	v_fma_f64 v[4:5], v[2:3], s[16:17], v[4:5]
	v_fma_f64 v[24:25], v[12:13], s[16:17], -v[24:25]
	v_add_f64_e32 v[14:15], v[14:15], v[242:243]
	s_delay_alu instid0(VALU_DEP_4) | instskip(NEXT) | instid1(VALU_DEP_4)
	v_add_f64_e32 v[72:73], v[72:73], v[146:147]
	v_add_f64_e32 v[4:5], v[4:5], v[244:245]
	s_delay_alu instid0(VALU_DEP_4) | instskip(NEXT) | instid1(VALU_DEP_4)
	v_add_f64_e32 v[24:25], v[24:25], v[246:247]
	v_add_f64_e32 v[14:15], v[84:85], v[14:15]
	v_mul_f64_e32 v[84:85], s[38:39], v[210:211]
	s_delay_alu instid0(VALU_DEP_1) | instskip(NEXT) | instid1(VALU_DEP_1)
	v_fma_f64 v[144:145], v[212:213], s[18:19], v[84:85]
	v_add_f64_e32 v[72:73], v[144:145], v[72:73]
	v_mul_f64_e32 v[144:145], s[36:37], v[214:215]
	s_delay_alu instid0(VALU_DEP_1) | instskip(NEXT) | instid1(VALU_DEP_1)
	v_fma_f64 v[146:147], v[216:217], s[14:15], -v[144:145]
	v_add_f64_e32 v[14:15], v[146:147], v[14:15]
	v_mul_f64_e32 v[146:147], s[36:37], v[252:253]
	s_delay_alu instid0(VALU_DEP_1) | instskip(NEXT) | instid1(VALU_DEP_1)
	v_fma_f64 v[218:219], v[254:255], s[14:15], v[146:147]
	v_add_f64_e32 v[72:73], v[218:219], v[72:73]
	v_mul_f64_e32 v[218:219], s[30:31], v[76:77]
	s_delay_alu instid0(VALU_DEP_1) | instskip(NEXT) | instid1(VALU_DEP_1)
	v_fma_f64 v[240:241], v[78:79], s[0:1], -v[218:219]
	v_add_f64_e32 v[240:241], v[240:241], v[14:15]
	v_mul_f64_e32 v[14:15], s[30:31], v[8:9]
	s_delay_alu instid0(VALU_DEP_1) | instskip(SKIP_1) | instid1(VALU_DEP_2)
	v_fma_f64 v[242:243], v[86:87], s[0:1], v[14:15]
	v_fma_f64 v[14:15], v[86:87], s[0:1], -v[14:15]
	v_add_f64_e32 v[242:243], v[242:243], v[72:73]
	v_fma_f64 v[72:73], v[208:209], s[18:19], v[74:75]
	s_delay_alu instid0(VALU_DEP_1) | instskip(SKIP_1) | instid1(VALU_DEP_1)
	v_add_f64_e32 v[4:5], v[72:73], v[4:5]
	v_fma_f64 v[72:73], v[212:213], s[18:19], -v[84:85]
	v_add_f64_e32 v[24:25], v[72:73], v[24:25]
	v_fma_f64 v[72:73], v[216:217], s[14:15], v[144:145]
	v_mul_f64_e32 v[144:145], s[34:35], v[26:27]
	s_delay_alu instid0(VALU_DEP_2) | instskip(SKIP_1) | instid1(VALU_DEP_3)
	v_add_f64_e32 v[4:5], v[72:73], v[4:5]
	v_fma_f64 v[72:73], v[254:255], s[14:15], -v[146:147]
	v_fma_f64 v[146:147], v[208:209], s[12:13], -v[144:145]
	s_delay_alu instid0(VALU_DEP_2) | instskip(SKIP_1) | instid1(VALU_DEP_2)
	v_add_f64_e32 v[24:25], v[72:73], v[24:25]
	v_fma_f64 v[72:73], v[78:79], s[0:1], v[218:219]
	v_add_f64_e32 v[74:75], v[14:15], v[24:25]
	s_delay_alu instid0(VALU_DEP_2) | instskip(SKIP_2) | instid1(VALU_DEP_2)
	v_add_f64_e32 v[72:73], v[72:73], v[4:5]
	v_mul_f64_e32 v[4:5], s[38:39], v[0:1]
	v_mul_f64_e32 v[24:25], s[38:39], v[10:11]
	v_fma_f64 v[14:15], v[2:3], s[18:19], -v[4:5]
	s_delay_alu instid0(VALU_DEP_2) | instskip(SKIP_2) | instid1(VALU_DEP_4)
	v_fma_f64 v[84:85], v[12:13], s[18:19], v[24:25]
	v_fma_f64 v[4:5], v[2:3], s[18:19], v[4:5]
	v_fma_f64 v[24:25], v[12:13], s[18:19], -v[24:25]
	v_add_f64_e32 v[14:15], v[14:15], v[248:249]
	s_delay_alu instid0(VALU_DEP_4)
	v_add_f64_e32 v[84:85], v[84:85], v[250:251]
	v_mul_f64_e32 v[248:249], s[22:23], v[252:253]
	v_add_f64_e32 v[4:5], v[4:5], v[82:83]
	v_add_f64_e32 v[24:25], v[24:25], v[80:81]
	v_fma_f64 v[80:81], v[208:209], s[12:13], v[144:145]
	v_mul_f64_e32 v[250:251], s[24:25], v[76:77]
	v_mul_f64_e32 v[144:145], s[26:27], v[252:253]
	v_add_f64_e32 v[14:15], v[146:147], v[14:15]
	v_mul_f64_e32 v[146:147], s[34:35], v[210:211]
	v_add_f64_e32 v[4:5], v[80:81], v[4:5]
	s_delay_alu instid0(VALU_DEP_2) | instskip(SKIP_3) | instid1(VALU_DEP_4)
	v_fma_f64 v[218:219], v[212:213], s[12:13], v[146:147]
	v_fma_f64 v[80:81], v[212:213], s[12:13], -v[146:147]
	v_mul_f64_e32 v[146:147], s[34:35], v[76:77]
	v_mul_f64_e32 v[76:77], s[20:21], v[76:77]
	v_add_f64_e32 v[84:85], v[218:219], v[84:85]
	v_mul_f64_e32 v[218:219], s[22:23], v[214:215]
	v_add_f64_e32 v[24:25], v[80:81], v[24:25]
	s_delay_alu instid0(VALU_DEP_2) | instskip(SKIP_2) | instid1(VALU_DEP_3)
	v_fma_f64 v[244:245], v[216:217], s[0:1], -v[218:219]
	v_fma_f64 v[80:81], v[216:217], s[0:1], v[218:219]
	v_mul_f64_e32 v[218:219], s[22:23], v[26:27]
	v_add_f64_e32 v[14:15], v[244:245], v[14:15]
	v_fma_f64 v[244:245], v[254:255], s[0:1], v[248:249]
	s_delay_alu instid0(VALU_DEP_4) | instskip(SKIP_2) | instid1(VALU_DEP_4)
	v_add_f64_e32 v[4:5], v[80:81], v[4:5]
	v_fma_f64 v[80:81], v[254:255], s[0:1], -v[248:249]
	v_mul_f64_e32 v[248:249], s[22:23], v[210:211]
	v_add_f64_e32 v[84:85], v[244:245], v[84:85]
	v_fma_f64 v[244:245], v[78:79], s[16:17], -v[250:251]
	s_delay_alu instid0(VALU_DEP_4) | instskip(SKIP_2) | instid1(VALU_DEP_4)
	v_add_f64_e32 v[24:25], v[80:81], v[24:25]
	v_fma_f64 v[80:81], v[78:79], s[16:17], v[250:251]
	v_mul_f64_e32 v[250:251], s[26:27], v[214:215]
	v_add_f64_e32 v[244:245], v[244:245], v[14:15]
	v_mul_f64_e32 v[14:15], s[24:25], v[8:9]
	s_delay_alu instid0(VALU_DEP_4) | instskip(SKIP_2) | instid1(VALU_DEP_4)
	v_add_f64_e32 v[80:81], v[80:81], v[4:5]
	v_mul_f64_e32 v[4:5], s[36:37], v[0:1]
	v_mul_f64_e32 v[0:1], s[30:31], v[0:1]
	v_fma_f64 v[246:247], v[86:87], s[16:17], v[14:15]
	v_fma_f64 v[14:15], v[86:87], s[16:17], -v[14:15]
	s_delay_alu instid0(VALU_DEP_2) | instskip(NEXT) | instid1(VALU_DEP_2)
	v_add_f64_e32 v[246:247], v[246:247], v[84:85]
	v_add_f64_e32 v[82:83], v[14:15], v[24:25]
	v_mul_f64_e32 v[24:25], s[36:37], v[10:11]
	v_fma_f64 v[14:15], v[2:3], s[14:15], -v[4:5]
	v_fma_f64 v[4:5], v[2:3], s[14:15], v[4:5]
	s_delay_alu instid0(VALU_DEP_3) | instskip(NEXT) | instid1(VALU_DEP_3)
	v_fma_f64 v[84:85], v[12:13], s[14:15], v[24:25]
	v_add_f64_e32 v[14:15], v[14:15], v[114:115]
	s_delay_alu instid0(VALU_DEP_3) | instskip(SKIP_3) | instid1(VALU_DEP_1)
	v_add_f64_e32 v[4:5], v[4:5], v[230:231]
	scratch_load_b64 v[230:231], off, off offset:1260 ; 8-byte Folded Reload
	v_add_f64_e32 v[84:85], v[84:85], v[112:113]
	v_fma_f64 v[112:113], v[208:209], s[0:1], -v[218:219]
	v_add_f64_e32 v[14:15], v[112:113], v[14:15]
	v_fma_f64 v[112:113], v[212:213], s[0:1], v[248:249]
	s_delay_alu instid0(VALU_DEP_1) | instskip(SKIP_1) | instid1(VALU_DEP_1)
	v_add_f64_e32 v[84:85], v[112:113], v[84:85]
	v_fma_f64 v[112:113], v[216:217], s[18:19], -v[250:251]
	v_add_f64_e32 v[14:15], v[112:113], v[14:15]
	v_fma_f64 v[112:113], v[254:255], s[18:19], v[144:145]
	s_delay_alu instid0(VALU_DEP_1) | instskip(SKIP_1) | instid1(VALU_DEP_1)
	v_add_f64_e32 v[84:85], v[112:113], v[84:85]
	v_fma_f64 v[112:113], v[78:79], s[12:13], -v[146:147]
	v_add_f64_e32 v[112:113], v[112:113], v[14:15]
	v_mul_f64_e32 v[14:15], s[34:35], v[8:9]
	v_mul_f64_e32 v[8:9], s[20:21], v[8:9]
	s_delay_alu instid0(VALU_DEP_2) | instskip(SKIP_1) | instid1(VALU_DEP_2)
	v_fma_f64 v[114:115], v[86:87], s[12:13], v[14:15]
	v_fma_f64 v[14:15], v[86:87], s[12:13], -v[14:15]
	v_add_f64_e32 v[114:115], v[114:115], v[84:85]
	v_add_f64_e32 v[84:85], v[116:117], v[60:61]
	;; [unrolled: 1-line block ×3, first 2 shown]
	s_delay_alu instid0(VALU_DEP_2) | instskip(NEXT) | instid1(VALU_DEP_2)
	v_add_f64_e32 v[84:85], v[84:85], v[6:7]
	v_add_f64_e32 v[6:7], v[116:117], v[221:222]
	s_delay_alu instid0(VALU_DEP_2) | instskip(NEXT) | instid1(VALU_DEP_2)
	v_add_f64_e32 v[84:85], v[84:85], v[202:203]
	v_add_f64_e32 v[6:7], v[6:7], v[236:237]
	;; [unrolled: 3-line block ×4, first 2 shown]
	v_add_f64_e32 v[164:165], v[102:103], v[128:129]
	v_add_f64_e64 v[166:167], v[102:103], -v[128:129]
	s_delay_alu instid0(VALU_DEP_4) | instskip(NEXT) | instid1(VALU_DEP_4)
	v_add_f64_e32 v[84:85], v[84:85], v[168:169]
	v_add_f64_e32 v[6:7], v[6:7], v[160:161]
	;; [unrolled: 1-line block ×3, first 2 shown]
	v_add_f64_e64 v[168:169], v[98:99], -v[104:105]
	s_delay_alu instid0(VALU_DEP_4) | instskip(NEXT) | instid1(VALU_DEP_4)
	v_add_f64_e32 v[84:85], v[84:85], v[162:163]
	v_add_f64_e32 v[6:7], v[6:7], v[152:153]
	;; [unrolled: 1-line block ×3, first 2 shown]
	s_delay_alu instid0(VALU_DEP_3) | instskip(NEXT) | instid1(VALU_DEP_3)
	v_add_f64_e32 v[84:85], v[84:85], v[154:155]
	v_add_f64_e32 v[6:7], v[6:7], v[158:159]
	;; [unrolled: 1-line block ×3, first 2 shown]
	s_delay_alu instid0(VALU_DEP_3) | instskip(NEXT) | instid1(VALU_DEP_3)
	v_add_f64_e32 v[236:237], v[84:85], v[156:157]
	v_add_f64_e32 v[238:239], v[6:7], v[170:171]
	;; [unrolled: 1-line block ×5, first 2 shown]
	s_delay_alu instid0(VALU_DEP_3) | instskip(NEXT) | instid1(VALU_DEP_3)
	v_add_f64_e32 v[6:7], v[6:7], v[176:177]
	v_add_f64_e32 v[84:85], v[84:85], v[178:179]
	s_delay_alu instid0(VALU_DEP_2) | instskip(NEXT) | instid1(VALU_DEP_2)
	v_add_f64_e32 v[6:7], v[6:7], v[182:183]
	v_add_f64_e32 v[84:85], v[84:85], v[184:185]
	s_delay_alu instid0(VALU_DEP_2) | instskip(NEXT) | instid1(VALU_DEP_2)
	;; [unrolled: 3-line block ×6, first 2 shown]
	v_add_f64_e32 v[6:7], v[6:7], v[172:173]
	v_add_f64_e32 v[84:85], v[84:85], v[174:175]
	;; [unrolled: 1-line block ×3, first 2 shown]
	v_add_f64_e64 v[174:175], v[96:97], -v[100:101]
	s_delay_alu instid0(VALU_DEP_4)
	v_add_f64_e32 v[120:121], v[6:7], v[204:205]
	v_fma_f64 v[6:7], v[12:13], s[14:15], -v[24:25]
	v_fma_f64 v[24:25], v[208:209], s[0:1], v[218:219]
	v_add_f64_e32 v[122:123], v[84:85], v[206:207]
	scratch_load_b64 v[218:219], off, off offset:1184 ; 8-byte Folded Reload
	v_add_f64_e32 v[6:7], v[6:7], v[228:229]
	v_add_f64_e32 v[4:5], v[24:25], v[4:5]
	v_fma_f64 v[24:25], v[212:213], s[0:1], -v[248:249]
	s_clause 0x1
	scratch_load_b64 v[228:229], off, off offset:1252
	scratch_load_b64 v[248:249], off, off offset:1220
	v_add_f64_e32 v[6:7], v[24:25], v[6:7]
	v_fma_f64 v[24:25], v[216:217], s[18:19], v[250:251]
	scratch_load_b64 v[250:251], off, off offset:1236 ; 8-byte Folded Reload
	v_add_f64_e32 v[4:5], v[24:25], v[4:5]
	v_fma_f64 v[24:25], v[254:255], s[18:19], -v[144:145]
	s_delay_alu instid0(VALU_DEP_1) | instskip(SKIP_1) | instid1(VALU_DEP_2)
	v_add_f64_e32 v[6:7], v[24:25], v[6:7]
	v_fma_f64 v[24:25], v[78:79], s[12:13], v[146:147]
	v_add_f64_e32 v[118:119], v[14:15], v[6:7]
	s_delay_alu instid0(VALU_DEP_2) | instskip(SKIP_4) | instid1(VALU_DEP_4)
	v_add_f64_e32 v[116:117], v[24:25], v[4:5]
	v_fma_f64 v[4:5], v[2:3], s[0:1], -v[0:1]
	v_mul_f64_e32 v[14:15], s[24:25], v[26:27]
	v_mul_f64_e32 v[6:7], s[30:31], v[10:11]
	v_fma_f64 v[0:1], v[2:3], s[0:1], v[0:1]
	v_add_f64_e32 v[4:5], v[4:5], v[126:127]
	s_delay_alu instid0(VALU_DEP_4) | instskip(NEXT) | instid1(VALU_DEP_4)
	v_fma_f64 v[24:25], v[208:209], s[16:17], -v[14:15]
	v_fma_f64 v[10:11], v[12:13], s[0:1], v[6:7]
	s_delay_alu instid0(VALU_DEP_4) | instskip(SKIP_1) | instid1(VALU_DEP_4)
	v_add_f64_e32 v[0:1], v[0:1], v[196:197]
	v_fma_f64 v[2:3], v[12:13], s[0:1], -v[6:7]
	v_add_f64_e32 v[4:5], v[24:25], v[4:5]
	v_mul_f64_e32 v[24:25], s[24:25], v[210:211]
	v_add_f64_e32 v[10:11], v[10:11], v[124:125]
	s_delay_alu instid0(VALU_DEP_4)
	v_add_f64_e32 v[2:3], v[2:3], v[198:199]
	scratch_load_b64 v[210:211], off, off offset:1136 ; 8-byte Folded Reload
	v_fma_f64 v[26:27], v[212:213], s[16:17], v[24:25]
	v_fma_f64 v[6:7], v[212:213], s[16:17], -v[24:25]
	s_clause 0x1
	scratch_load_b64 v[212:213], off, off offset:1072
	scratch_load_b64 v[18:19], off, off offset:20 th:TH_LOAD_LU
	s_wait_loadcnt 0x8
	v_add_f64_e32 v[180:181], v[16:17], v[92:93]
	v_add_f64_e64 v[182:183], v[16:17], -v[92:93]
	v_add_f64_e32 v[10:11], v[26:27], v[10:11]
	v_mul_f64_e32 v[26:27], s[34:35], v[214:215]
	v_add_f64_e32 v[2:3], v[6:7], v[2:3]
	s_delay_alu instid0(VALU_DEP_2) | instskip(NEXT) | instid1(VALU_DEP_1)
	v_fma_f64 v[84:85], v[216:217], s[12:13], -v[26:27]
	v_add_f64_e32 v[4:5], v[84:85], v[4:5]
	v_mul_f64_e32 v[84:85], s[34:35], v[252:253]
	scratch_load_b64 v[252:253], off, off offset:1204 ; 8-byte Folded Reload
	v_fma_f64 v[124:125], v[254:255], s[12:13], v[84:85]
	v_fma_f64 v[6:7], v[254:255], s[12:13], -v[84:85]
	s_clause 0x1
	scratch_load_b64 v[254:255], off, off offset:1168
	scratch_load_b64 v[214:215], off, off offset:1120
	v_add_f64_e32 v[10:11], v[124:125], v[10:11]
	v_fma_f64 v[124:125], v[78:79], s[14:15], -v[76:77]
	v_add_f64_e32 v[2:3], v[6:7], v[2:3]
	v_fma_f64 v[6:7], v[86:87], s[14:15], -v[8:9]
	s_delay_alu instid0(VALU_DEP_3) | instskip(SKIP_1) | instid1(VALU_DEP_3)
	v_add_f64_e32 v[124:125], v[124:125], v[4:5]
	v_fma_f64 v[4:5], v[86:87], s[14:15], v[8:9]
	v_add_f64_e32 v[150:151], v[6:7], v[2:3]
	v_add_f64_e32 v[2:3], v[22:23], v[142:143]
	v_add_f64_e64 v[6:7], v[140:141], -v[224:225]
	s_delay_alu instid0(VALU_DEP_4)
	v_add_f64_e32 v[126:127], v[4:5], v[10:11]
	v_fma_f64 v[4:5], v[208:209], s[16:17], v[14:15]
	scratch_load_b64 v[208:209], off, off offset:1048 ; 8-byte Folded Reload
	v_add_f64_e32 v[2:3], v[2:3], v[110:111]
	v_mul_f64_e32 v[86:87], s[28:29], v[6:7]
	v_add_f64_e32 v[0:1], v[4:5], v[0:1]
	v_fma_f64 v[4:5], v[216:217], s[12:13], v[26:27]
	s_delay_alu instid0(VALU_DEP_4)
	v_add_f64_e32 v[2:3], v[2:3], v[106:107]
	scratch_load_b64 v[216:217], off, off offset:1104 ; 8-byte Folded Reload
	s_wait_loadcnt 0x5
	v_add_f64_e64 v[176:177], v[18:19], -v[94:95]
	v_add_f64_e32 v[178:179], v[18:19], v[94:95]
	v_add_f64_e32 v[0:1], v[4:5], v[0:1]
	v_fma_f64 v[4:5], v[78:79], s[14:15], v[76:77]
	v_add_f64_e32 v[2:3], v[2:3], v[98:99]
	s_delay_alu instid0(VALU_DEP_2) | instskip(SKIP_1) | instid1(VALU_DEP_3)
	v_add_f64_e32 v[148:149], v[4:5], v[0:1]
	v_add_f64_e32 v[0:1], v[20:21], v[140:141]
	v_add_f64_e32 v[2:3], v[2:3], v[18:19]
	v_add_f64_e32 v[4:5], v[140:141], v[224:225]
	v_mul_f64_e32 v[140:141], s[20:21], v[6:7]
	s_delay_alu instid0(VALU_DEP_4) | instskip(NEXT) | instid1(VALU_DEP_4)
	v_add_f64_e32 v[0:1], v[0:1], v[108:109]
	v_add_f64_e32 v[2:3], v[2:3], v[94:95]
	s_delay_alu instid0(VALU_DEP_2) | instskip(NEXT) | instid1(VALU_DEP_2)
	v_add_f64_e32 v[0:1], v[0:1], v[102:103]
	v_add_f64_e32 v[2:3], v[2:3], v[104:105]
	s_delay_alu instid0(VALU_DEP_2) | instskip(NEXT) | instid1(VALU_DEP_2)
	v_add_f64_e32 v[0:1], v[0:1], v[96:97]
	v_add_f64_e32 v[2:3], v[2:3], v[130:131]
	v_mul_f64_e32 v[96:97], s[24:25], v[168:169]
	s_delay_alu instid0(VALU_DEP_3) | instskip(NEXT) | instid1(VALU_DEP_3)
	v_add_f64_e32 v[0:1], v[0:1], v[16:17]
	v_add_f64_e32 v[2:3], v[2:3], v[134:135]
	s_delay_alu instid0(VALU_DEP_3)
	v_fma_f64 v[98:99], v[172:173], s[16:17], -v[96:97]
	scratch_load_b64 v[16:17], off, off offset:936 ; 8-byte Folded Reload
	v_add_f64_e32 v[0:1], v[0:1], v[92:93]
	v_add_f64_e32 v[138:139], v[2:3], v[226:227]
	;; [unrolled: 1-line block ×3, first 2 shown]
	v_mul_f64_e32 v[92:93], s[26:27], v[176:177]
	s_delay_alu instid0(VALU_DEP_4) | instskip(NEXT) | instid1(VALU_DEP_3)
	v_add_f64_e32 v[0:1], v[0:1], v[100:101]
	v_fma_f64 v[146:147], v[2:3], s[12:13], v[86:87]
	v_fma_f64 v[152:153], v[2:3], s[14:15], v[140:141]
	v_fma_f64 v[86:87], v[2:3], s[12:13], -v[86:87]
	v_fma_f64 v[140:141], v[2:3], s[14:15], -v[140:141]
	;; [unrolled: 1-line block ×3, first 2 shown]
	v_add_f64_e32 v[0:1], v[0:1], v[128:129]
	s_delay_alu instid0(VALU_DEP_4) | instskip(NEXT) | instid1(VALU_DEP_4)
	v_add_f64_e32 v[86:87], v[22:23], v[86:87]
	v_add_f64_e32 v[140:141], v[22:23], v[140:141]
	s_delay_alu instid0(VALU_DEP_3) | instskip(SKIP_1) | instid1(VALU_DEP_2)
	v_add_f64_e32 v[0:1], v[0:1], v[132:133]
	v_add_f64_e64 v[132:133], v[108:109], -v[132:133]
	v_add_f64_e32 v[136:137], v[0:1], v[224:225]
	v_add_f64_e64 v[0:1], v[142:143], -v[226:227]
	v_mul_f64_e32 v[142:143], s[24:25], v[6:7]
	s_clause 0x2
	scratch_load_b64 v[226:227], off, off offset:1016
	scratch_load_b64 v[224:225], off, off offset:1032
	;; [unrolled: 1-line block ×3, first 2 shown]
	v_mul_f64_e32 v[8:9], s[22:23], v[0:1]
	v_mul_f64_e32 v[10:11], s[28:29], v[0:1]
	;; [unrolled: 1-line block ×5, first 2 shown]
	v_fma_f64 v[154:155], v[2:3], s[16:17], v[142:143]
	v_fma_f64 v[142:143], v[2:3], s[16:17], -v[142:143]
	v_fma_f64 v[24:25], v[4:5], s[0:1], -v[8:9]
	v_fma_f64 v[8:9], v[4:5], s[0:1], v[8:9]
	v_fma_f64 v[26:27], v[4:5], s[12:13], -v[10:11]
	v_fma_f64 v[10:11], v[4:5], s[12:13], v[10:11]
	;; [unrolled: 2-line block ×5, first 2 shown]
	v_mul_f64_e32 v[4:5], s[22:23], v[6:7]
	v_mul_f64_e32 v[6:7], s[26:27], v[6:7]
	v_add_f64_e32 v[142:143], v[22:23], v[142:143]
	v_add_f64_e32 v[8:9], v[20:21], v[8:9]
	v_add_f64_e32 v[26:27], v[20:21], v[26:27]
	v_add_f64_e32 v[10:11], v[20:21], v[10:11]
	v_add_f64_e32 v[76:77], v[20:21], v[76:77]
	v_add_f64_e32 v[12:13], v[20:21], v[12:13]
	v_add_f64_e32 v[78:79], v[20:21], v[78:79]
	v_add_f64_e32 v[14:15], v[20:21], v[14:15]
	v_add_f64_e32 v[84:85], v[20:21], v[84:85]
	v_add_f64_e32 v[0:1], v[20:21], v[0:1]
	v_fma_f64 v[144:145], v[2:3], s[0:1], v[4:5]
	v_fma_f64 v[156:157], v[2:3], s[18:19], v[6:7]
	v_fma_f64 v[4:5], v[2:3], s[0:1], -v[4:5]
	v_fma_f64 v[2:3], v[2:3], s[18:19], -v[6:7]
	v_add_f64_e32 v[6:7], v[20:21], v[24:25]
	s_wait_loadcnt 0x3
	v_add_f64_e32 v[188:189], v[16:17], v[252:253]
	v_dual_mov_b32 v222, v17 :: v_dual_mov_b32 v221, v16
	v_add_f64_e32 v[24:25], v[22:23], v[144:145]
	v_add_f64_e32 v[144:145], v[22:23], v[146:147]
	;; [unrolled: 1-line block ×5, first 2 shown]
	v_add_f64_e64 v[156:157], v[110:111], -v[134:135]
	v_add_f64_e32 v[4:5], v[22:23], v[4:5]
	v_add_f64_e32 v[2:3], v[22:23], v[2:3]
	v_add_f64_e64 v[134:135], v[106:107], -v[130:131]
	s_delay_alu instid0(VALU_DEP_4) | instskip(NEXT) | instid1(VALU_DEP_2)
	v_mul_f64_e32 v[20:21], s[28:29], v[156:157]
	v_mul_f64_e32 v[102:103], s[20:21], v[134:135]
	s_delay_alu instid0(VALU_DEP_2) | instskip(SKIP_1) | instid1(VALU_DEP_3)
	v_fma_f64 v[22:23], v[160:161], s[12:13], -v[20:21]
	v_fma_f64 v[20:21], v[160:161], s[12:13], v[20:21]
	v_fma_f64 v[106:107], v[164:165], s[14:15], -v[102:103]
	s_delay_alu instid0(VALU_DEP_3) | instskip(SKIP_1) | instid1(VALU_DEP_4)
	v_add_f64_e32 v[6:7], v[22:23], v[6:7]
	v_mul_f64_e32 v[22:23], s[28:29], v[132:133]
	v_add_f64_e32 v[8:9], v[20:21], v[8:9]
	s_delay_alu instid0(VALU_DEP_3) | instskip(NEXT) | instid1(VALU_DEP_3)
	v_add_f64_e32 v[6:7], v[106:107], v[6:7]
	v_fma_f64 v[20:21], v[158:159], s[12:13], -v[22:23]
	v_mul_f64_e32 v[106:107], s[20:21], v[166:167]
	v_fma_f64 v[108:109], v[158:159], s[12:13], v[22:23]
	s_wait_loadcnt 0x0
	v_add_f64_e32 v[190:191], v[18:19], v[254:255]
	v_add_f64_e32 v[6:7], v[98:99], v[6:7]
	;; [unrolled: 1-line block ×3, first 2 shown]
	v_fma_f64 v[20:21], v[164:165], s[14:15], v[102:103]
	v_mul_f64_e32 v[98:99], s[24:25], v[174:175]
	v_add_f64_e32 v[24:25], v[108:109], v[24:25]
	v_fma_f64 v[108:109], v[162:163], s[14:15], v[106:107]
	v_mul_f64_e32 v[102:103], s[30:31], v[176:177]
	v_add_f64_e32 v[88:89], v[88:89], v[6:7]
	v_mul_f64_e32 v[6:7], s[26:27], v[182:183]
	v_add_f64_e32 v[8:9], v[20:21], v[8:9]
	v_fma_f64 v[20:21], v[162:163], s[14:15], -v[106:107]
	v_fma_f64 v[100:101], v[170:171], s[16:17], v[98:99]
	v_add_f64_e32 v[24:25], v[108:109], v[24:25]
	v_fma_f64 v[90:91], v[178:179], s[18:19], v[6:7]
	v_fma_f64 v[6:7], v[178:179], s[18:19], -v[6:7]
	v_add_f64_e32 v[4:5], v[20:21], v[4:5]
	v_fma_f64 v[20:21], v[172:173], s[16:17], v[96:97]
	v_add_f64_e32 v[24:25], v[100:101], v[24:25]
	v_mul_f64_e32 v[100:101], s[36:37], v[174:175]
	s_delay_alu instid0(VALU_DEP_3) | instskip(SKIP_1) | instid1(VALU_DEP_4)
	v_add_f64_e32 v[8:9], v[20:21], v[8:9]
	v_fma_f64 v[20:21], v[170:171], s[16:17], -v[98:99]
	v_add_f64_e32 v[90:91], v[90:91], v[24:25]
	s_delay_alu instid0(VALU_DEP_2) | instskip(SKIP_1) | instid1(VALU_DEP_2)
	v_add_f64_e32 v[4:5], v[20:21], v[4:5]
	v_fma_f64 v[20:21], v[180:181], s[18:19], v[92:93]
	v_add_f64_e32 v[22:23], v[6:7], v[4:5]
	v_mul_f64_e32 v[4:5], s[24:25], v[156:157]
	s_delay_alu instid0(VALU_DEP_3) | instskip(SKIP_1) | instid1(VALU_DEP_3)
	v_add_f64_e32 v[20:21], v[20:21], v[8:9]
	v_mul_f64_e32 v[8:9], s[24:25], v[132:133]
	v_fma_f64 v[6:7], v[160:161], s[16:17], -v[4:5]
	v_fma_f64 v[4:5], v[160:161], s[16:17], v[4:5]
	s_delay_alu instid0(VALU_DEP_3) | instskip(SKIP_1) | instid1(VALU_DEP_4)
	v_fma_f64 v[24:25], v[158:159], s[16:17], v[8:9]
	v_fma_f64 v[8:9], v[158:159], s[16:17], -v[8:9]
	v_add_f64_e32 v[6:7], v[6:7], v[26:27]
	v_mul_f64_e32 v[26:27], s[38:39], v[134:135]
	s_delay_alu instid0(VALU_DEP_4) | instskip(SKIP_2) | instid1(VALU_DEP_4)
	v_add_f64_e32 v[24:25], v[24:25], v[144:145]
	v_add_f64_e32 v[4:5], v[4:5], v[10:11]
	;; [unrolled: 1-line block ×3, first 2 shown]
	v_fma_f64 v[92:93], v[164:165], s[18:19], -v[26:27]
	v_fma_f64 v[10:11], v[164:165], s[18:19], v[26:27]
	s_delay_alu instid0(VALU_DEP_2) | instskip(SKIP_1) | instid1(VALU_DEP_3)
	v_add_f64_e32 v[6:7], v[92:93], v[6:7]
	v_mul_f64_e32 v[92:93], s[38:39], v[166:167]
	v_add_f64_e32 v[4:5], v[10:11], v[4:5]
	s_delay_alu instid0(VALU_DEP_2) | instskip(SKIP_1) | instid1(VALU_DEP_2)
	v_fma_f64 v[94:95], v[162:163], s[18:19], v[92:93]
	v_fma_f64 v[10:11], v[162:163], s[18:19], -v[92:93]
	v_add_f64_e32 v[24:25], v[94:95], v[24:25]
	v_mul_f64_e32 v[94:95], s[36:37], v[168:169]
	s_delay_alu instid0(VALU_DEP_3) | instskip(NEXT) | instid1(VALU_DEP_2)
	v_add_f64_e32 v[8:9], v[10:11], v[8:9]
	v_fma_f64 v[96:97], v[172:173], s[14:15], -v[94:95]
	v_fma_f64 v[10:11], v[172:173], s[14:15], v[94:95]
	s_delay_alu instid0(VALU_DEP_2) | instskip(SKIP_1) | instid1(VALU_DEP_3)
	v_add_f64_e32 v[6:7], v[96:97], v[6:7]
	v_fma_f64 v[96:97], v[170:171], s[14:15], v[100:101]
	v_add_f64_e32 v[4:5], v[10:11], v[4:5]
	v_fma_f64 v[10:11], v[170:171], s[14:15], -v[100:101]
	s_delay_alu instid0(VALU_DEP_3) | instskip(SKIP_1) | instid1(VALU_DEP_3)
	v_add_f64_e32 v[24:25], v[96:97], v[24:25]
	v_fma_f64 v[96:97], v[180:181], s[0:1], -v[102:103]
	v_add_f64_e32 v[8:9], v[10:11], v[8:9]
	v_fma_f64 v[10:11], v[180:181], s[0:1], v[102:103]
	s_delay_alu instid0(VALU_DEP_3) | instskip(SKIP_1) | instid1(VALU_DEP_3)
	v_add_f64_e32 v[96:97], v[96:97], v[6:7]
	v_mul_f64_e32 v[6:7], s[30:31], v[182:183]
	v_add_f64_e32 v[92:93], v[10:11], v[4:5]
	v_mul_f64_e32 v[4:5], s[38:39], v[156:157]
	s_delay_alu instid0(VALU_DEP_3) | instskip(SKIP_1) | instid1(VALU_DEP_2)
	v_fma_f64 v[98:99], v[178:179], s[0:1], v[6:7]
	v_fma_f64 v[6:7], v[178:179], s[0:1], -v[6:7]
	v_add_f64_e32 v[98:99], v[98:99], v[24:25]
	s_delay_alu instid0(VALU_DEP_2) | instskip(SKIP_4) | instid1(VALU_DEP_4)
	v_add_f64_e32 v[94:95], v[6:7], v[8:9]
	v_fma_f64 v[6:7], v[160:161], s[18:19], -v[4:5]
	v_mul_f64_e32 v[24:25], s[34:35], v[134:135]
	v_mul_f64_e32 v[8:9], s[38:39], v[132:133]
	v_fma_f64 v[4:5], v[160:161], s[18:19], v[4:5]
	v_add_f64_e32 v[6:7], v[6:7], v[76:77]
	s_delay_alu instid0(VALU_DEP_4) | instskip(NEXT) | instid1(VALU_DEP_4)
	v_fma_f64 v[26:27], v[164:165], s[12:13], -v[24:25]
	v_fma_f64 v[10:11], v[158:159], s[18:19], v[8:9]
	s_delay_alu instid0(VALU_DEP_4)
	v_add_f64_e32 v[4:5], v[4:5], v[12:13]
	v_fma_f64 v[8:9], v[158:159], s[18:19], -v[8:9]
	v_mul_f64_e32 v[12:13], s[22:23], v[134:135]
	v_add_f64_e32 v[6:7], v[26:27], v[6:7]
	v_mul_f64_e32 v[26:27], s[34:35], v[166:167]
	v_add_f64_e32 v[10:11], v[10:11], v[146:147]
	v_add_f64_e32 v[8:9], v[8:9], v[140:141]
	s_delay_alu instid0(VALU_DEP_3) | instskip(NEXT) | instid1(VALU_DEP_1)
	v_fma_f64 v[76:77], v[162:163], s[12:13], v[26:27]
	v_add_f64_e32 v[10:11], v[76:77], v[10:11]
	v_mul_f64_e32 v[76:77], s[22:23], v[168:169]
	s_delay_alu instid0(VALU_DEP_1) | instskip(NEXT) | instid1(VALU_DEP_1)
	v_fma_f64 v[86:87], v[172:173], s[0:1], -v[76:77]
	v_add_f64_e32 v[6:7], v[86:87], v[6:7]
	v_mul_f64_e32 v[86:87], s[22:23], v[174:175]
	s_delay_alu instid0(VALU_DEP_1) | instskip(NEXT) | instid1(VALU_DEP_1)
	v_fma_f64 v[100:101], v[170:171], s[0:1], v[86:87]
	v_add_f64_e32 v[10:11], v[100:101], v[10:11]
	v_mul_f64_e32 v[100:101], s[24:25], v[176:177]
	s_delay_alu instid0(VALU_DEP_1) | instskip(NEXT) | instid1(VALU_DEP_1)
	v_fma_f64 v[102:103], v[180:181], s[16:17], -v[100:101]
	v_add_f64_e32 v[104:105], v[102:103], v[6:7]
	v_mul_f64_e32 v[6:7], s[24:25], v[182:183]
	s_delay_alu instid0(VALU_DEP_1) | instskip(SKIP_1) | instid1(VALU_DEP_2)
	v_fma_f64 v[102:103], v[178:179], s[16:17], v[6:7]
	v_fma_f64 v[6:7], v[178:179], s[16:17], -v[6:7]
	v_add_f64_e32 v[106:107], v[102:103], v[10:11]
	v_fma_f64 v[10:11], v[164:165], s[12:13], v[24:25]
	v_fma_f64 v[24:25], v[164:165], s[0:1], -v[12:13]
	s_delay_alu instid0(VALU_DEP_2) | instskip(SKIP_1) | instid1(VALU_DEP_1)
	v_add_f64_e32 v[4:5], v[10:11], v[4:5]
	v_fma_f64 v[10:11], v[162:163], s[12:13], -v[26:27]
	v_add_f64_e32 v[8:9], v[10:11], v[8:9]
	v_fma_f64 v[10:11], v[172:173], s[0:1], v[76:77]
	s_delay_alu instid0(VALU_DEP_1) | instskip(SKIP_1) | instid1(VALU_DEP_1)
	v_add_f64_e32 v[4:5], v[10:11], v[4:5]
	v_fma_f64 v[10:11], v[170:171], s[0:1], -v[86:87]
	v_add_f64_e32 v[8:9], v[10:11], v[8:9]
	v_fma_f64 v[10:11], v[180:181], s[16:17], v[100:101]
	s_delay_alu instid0(VALU_DEP_2) | instskip(NEXT) | instid1(VALU_DEP_2)
	v_add_f64_e32 v[102:103], v[6:7], v[8:9]
	v_add_f64_e32 v[100:101], v[10:11], v[4:5]
	v_mul_f64_e32 v[4:5], s[36:37], v[156:157]
	v_mul_f64_e32 v[8:9], s[36:37], v[132:133]
	s_delay_alu instid0(VALU_DEP_2) | instskip(NEXT) | instid1(VALU_DEP_2)
	v_fma_f64 v[6:7], v[160:161], s[14:15], -v[4:5]
	v_fma_f64 v[10:11], v[158:159], s[14:15], v[8:9]
	v_fma_f64 v[4:5], v[160:161], s[14:15], v[4:5]
	v_fma_f64 v[8:9], v[158:159], s[14:15], -v[8:9]
	s_delay_alu instid0(VALU_DEP_4) | instskip(NEXT) | instid1(VALU_DEP_4)
	v_add_f64_e32 v[6:7], v[6:7], v[78:79]
	v_add_f64_e32 v[10:11], v[10:11], v[152:153]
	s_delay_alu instid0(VALU_DEP_4) | instskip(NEXT) | instid1(VALU_DEP_4)
	v_add_f64_e32 v[4:5], v[4:5], v[14:15]
	v_add_f64_e32 v[8:9], v[8:9], v[142:143]
	s_delay_alu instid0(VALU_DEP_4) | instskip(SKIP_1) | instid1(VALU_DEP_1)
	v_add_f64_e32 v[6:7], v[24:25], v[6:7]
	v_mul_f64_e32 v[24:25], s[22:23], v[166:167]
	v_fma_f64 v[26:27], v[162:163], s[0:1], v[24:25]
	s_delay_alu instid0(VALU_DEP_1) | instskip(SKIP_1) | instid1(VALU_DEP_1)
	v_add_f64_e32 v[10:11], v[26:27], v[10:11]
	v_mul_f64_e32 v[26:27], s[26:27], v[168:169]
	v_fma_f64 v[76:77], v[172:173], s[18:19], -v[26:27]
	s_delay_alu instid0(VALU_DEP_1) | instskip(SKIP_1) | instid1(VALU_DEP_1)
	v_add_f64_e32 v[6:7], v[76:77], v[6:7]
	v_mul_f64_e32 v[76:77], s[26:27], v[174:175]
	v_fma_f64 v[78:79], v[170:171], s[18:19], v[76:77]
	s_delay_alu instid0(VALU_DEP_1) | instskip(SKIP_1) | instid1(VALU_DEP_1)
	v_add_f64_e32 v[10:11], v[78:79], v[10:11]
	v_mul_f64_e32 v[78:79], s[34:35], v[176:177]
	v_fma_f64 v[86:87], v[180:181], s[12:13], -v[78:79]
	s_delay_alu instid0(VALU_DEP_1) | instskip(SKIP_1) | instid1(VALU_DEP_1)
	v_add_f64_e32 v[108:109], v[86:87], v[6:7]
	v_mul_f64_e32 v[6:7], s[34:35], v[182:183]
	v_fma_f64 v[86:87], v[178:179], s[12:13], v[6:7]
	v_fma_f64 v[6:7], v[178:179], s[12:13], -v[6:7]
	s_delay_alu instid0(VALU_DEP_2) | instskip(SKIP_2) | instid1(VALU_DEP_2)
	v_add_f64_e32 v[110:111], v[86:87], v[10:11]
	v_fma_f64 v[10:11], v[164:165], s[0:1], v[12:13]
	v_mul_f64_e32 v[12:13], s[24:25], v[134:135]
	v_add_f64_e32 v[4:5], v[10:11], v[4:5]
	v_fma_f64 v[10:11], v[162:163], s[0:1], -v[24:25]
	s_delay_alu instid0(VALU_DEP_3) | instskip(NEXT) | instid1(VALU_DEP_2)
	v_fma_f64 v[14:15], v[164:165], s[16:17], -v[12:13]
	v_add_f64_e32 v[8:9], v[10:11], v[8:9]
	v_fma_f64 v[10:11], v[172:173], s[18:19], v[26:27]
	s_delay_alu instid0(VALU_DEP_1) | instskip(SKIP_1) | instid1(VALU_DEP_1)
	v_add_f64_e32 v[4:5], v[10:11], v[4:5]
	v_fma_f64 v[10:11], v[170:171], s[18:19], -v[76:77]
	v_add_f64_e32 v[8:9], v[10:11], v[8:9]
	v_fma_f64 v[10:11], v[180:181], s[12:13], v[78:79]
	v_mul_f64_e32 v[78:79], s[20:21], v[182:183]
	v_add_f64_e32 v[182:183], v[214:215], v[250:251]
	s_delay_alu instid0(VALU_DEP_4) | instskip(NEXT) | instid1(VALU_DEP_4)
	v_add_f64_e32 v[130:131], v[6:7], v[8:9]
	v_add_f64_e32 v[128:129], v[10:11], v[4:5]
	v_mul_f64_e32 v[4:5], s[30:31], v[156:157]
	v_mul_f64_e32 v[8:9], s[30:31], v[132:133]
	s_delay_alu instid0(VALU_DEP_2) | instskip(NEXT) | instid1(VALU_DEP_2)
	v_fma_f64 v[6:7], v[160:161], s[0:1], -v[4:5]
	v_fma_f64 v[10:11], v[158:159], s[0:1], v[8:9]
	v_fma_f64 v[4:5], v[160:161], s[0:1], v[4:5]
	s_delay_alu instid0(VALU_DEP_3) | instskip(NEXT) | instid1(VALU_DEP_3)
	v_add_f64_e32 v[6:7], v[6:7], v[84:85]
	v_add_f64_e32 v[10:11], v[10:11], v[154:155]
	s_delay_alu instid0(VALU_DEP_3)
	v_add_f64_e32 v[0:1], v[4:5], v[0:1]
	v_fma_f64 v[4:5], v[164:165], s[16:17], v[12:13]
	scratch_load_b64 v[12:13], off, off offset:196 ; 8-byte Folded Reload
	v_add_f64_e32 v[6:7], v[14:15], v[6:7]
	v_mul_f64_e32 v[14:15], s[24:25], v[166:167]
	v_add_f64_e32 v[0:1], v[4:5], v[0:1]
	s_delay_alu instid0(VALU_DEP_2) | instskip(NEXT) | instid1(VALU_DEP_1)
	v_fma_f64 v[24:25], v[162:163], s[16:17], v[14:15]
	v_add_f64_e32 v[10:11], v[24:25], v[10:11]
	v_mul_f64_e32 v[24:25], s[34:35], v[168:169]
	s_delay_alu instid0(VALU_DEP_1) | instskip(SKIP_2) | instid1(VALU_DEP_3)
	v_fma_f64 v[26:27], v[172:173], s[12:13], -v[24:25]
	v_fma_f64 v[4:5], v[172:173], s[12:13], v[24:25]
	v_add_f64_e32 v[172:173], v[216:217], v[228:229]
	v_add_f64_e32 v[6:7], v[26:27], v[6:7]
	v_mul_f64_e32 v[26:27], s[34:35], v[174:175]
	s_delay_alu instid0(VALU_DEP_4) | instskip(SKIP_1) | instid1(VALU_DEP_3)
	v_add_f64_e32 v[0:1], v[4:5], v[0:1]
	v_add_f64_e32 v[174:175], v[224:225], v[230:231]
	v_fma_f64 v[76:77], v[170:171], s[12:13], v[26:27]
	s_delay_alu instid0(VALU_DEP_1) | instskip(SKIP_1) | instid1(VALU_DEP_1)
	v_add_f64_e32 v[10:11], v[76:77], v[10:11]
	v_mul_f64_e32 v[76:77], s[20:21], v[176:177]
	v_fma_f64 v[84:85], v[180:181], s[14:15], -v[76:77]
	v_fma_f64 v[4:5], v[180:181], s[14:15], v[76:77]
	v_add_f64_e32 v[180:181], v[210:211], v[248:249]
	s_wait_loadcnt 0x0
	v_add_f64_e32 v[164:165], v[218:219], v[12:13]
	s_delay_alu instid0(VALU_DEP_4) | instskip(SKIP_3) | instid1(VALU_DEP_3)
	v_add_f64_e32 v[132:133], v[84:85], v[6:7]
	v_fma_f64 v[6:7], v[178:179], s[14:15], v[78:79]
	v_add_f64_e32 v[140:141], v[4:5], v[0:1]
	v_add_f64_e64 v[4:5], v[218:219], -v[12:13]
	v_add_f64_e32 v[134:135], v[6:7], v[10:11]
	v_fma_f64 v[6:7], v[158:159], s[0:1], -v[8:9]
	s_clause 0x1
	scratch_load_b64 v[8:9], off, off offset:148
	scratch_load_b64 v[10:11], off, off offset:164
	v_mul_f64_e32 v[156:157], s[28:29], v[4:5]
	v_add_f64_e32 v[2:3], v[6:7], v[2:3]
	v_fma_f64 v[6:7], v[162:163], s[16:17], -v[14:15]
	scratch_load_b64 v[14:15], off, off offset:180 ; 8-byte Folded Reload
	v_add_f64_e32 v[2:3], v[6:7], v[2:3]
	v_fma_f64 v[6:7], v[170:171], s[12:13], -v[26:27]
	s_delay_alu instid0(VALU_DEP_1) | instskip(SKIP_1) | instid1(VALU_DEP_1)
	v_add_f64_e32 v[2:3], v[6:7], v[2:3]
	v_fma_f64 v[6:7], v[178:179], s[14:15], -v[78:79]
	v_add_f64_e32 v[142:143], v[6:7], v[2:3]
	s_wait_loadcnt 0x2
	v_add_f64_e32 v[154:155], v[208:209], v[8:9]
	s_wait_loadcnt 0x1
	v_add_f64_e32 v[158:159], v[212:213], v[10:11]
	v_add_f64_e64 v[10:11], v[212:213], -v[10:11]
	s_wait_loadcnt 0x0
	v_add_f64_e64 v[0:1], v[226:227], -v[14:15]
	s_delay_alu instid0(VALU_DEP_3) | instskip(NEXT) | instid1(VALU_DEP_3)
	v_fma_f64 v[6:7], v[158:159], s[12:13], v[156:157]
	v_mul_f64_e32 v[160:161], s[28:29], v[10:11]
	v_mul_f64_e32 v[146:147], s[24:25], v[10:11]
	s_delay_alu instid0(VALU_DEP_4) | instskip(NEXT) | instid1(VALU_DEP_3)
	v_mul_f64_e32 v[152:153], s[22:23], v[0:1]
	v_fma_f64 v[12:13], v[164:165], s[12:13], -v[160:161]
	s_delay_alu instid0(VALU_DEP_3) | instskip(NEXT) | instid1(VALU_DEP_3)
	v_fma_f64 v[192:193], v[164:165], s[16:17], v[146:147]
	v_fma_f64 v[2:3], v[154:155], s[0:1], v[152:153]
	s_delay_alu instid0(VALU_DEP_1) | instskip(NEXT) | instid1(VALU_DEP_1)
	v_add_f64_e32 v[2:3], v[232:233], v[2:3]
	v_add_f64_e32 v[2:3], v[6:7], v[2:3]
	v_dual_mov_b32 v6, v8 :: v_dual_mov_b32 v7, v9
	v_dual_mov_b32 v8, v14 :: v_dual_mov_b32 v9, v15
	s_delay_alu instid0(VALU_DEP_2) | instskip(NEXT) | instid1(VALU_DEP_2)
	v_add_f64_e64 v[6:7], v[208:209], -v[6:7]
	v_add_f64_e32 v[166:167], v[226:227], v[8:9]
	s_delay_alu instid0(VALU_DEP_2) | instskip(NEXT) | instid1(VALU_DEP_1)
	v_mul_f64_e32 v[162:163], s[22:23], v[6:7]
	v_fma_f64 v[8:9], v[166:167], s[0:1], -v[162:163]
	s_delay_alu instid0(VALU_DEP_1) | instskip(NEXT) | instid1(VALU_DEP_1)
	v_add_f64_e32 v[8:9], v[234:235], v[8:9]
	v_add_f64_e32 v[8:9], v[12:13], v[8:9]
	v_add_f64_e64 v[12:13], v[224:225], -v[230:231]
	s_delay_alu instid0(VALU_DEP_1) | instskip(NEXT) | instid1(VALU_DEP_1)
	v_mul_f64_e32 v[168:169], s[20:21], v[12:13]
	v_fma_f64 v[14:15], v[172:173], s[14:15], v[168:169]
	s_delay_alu instid0(VALU_DEP_1) | instskip(SKIP_1) | instid1(VALU_DEP_1)
	v_add_f64_e32 v[2:3], v[14:15], v[2:3]
	v_add_f64_e64 v[14:15], v[216:217], -v[228:229]
	v_mul_f64_e32 v[170:171], s[20:21], v[14:15]
	s_delay_alu instid0(VALU_DEP_1) | instskip(NEXT) | instid1(VALU_DEP_1)
	v_fma_f64 v[24:25], v[174:175], s[14:15], -v[170:171]
	v_add_f64_e32 v[8:9], v[24:25], v[8:9]
	v_add_f64_e64 v[24:25], v[214:215], -v[250:251]
	s_delay_alu instid0(VALU_DEP_1) | instskip(NEXT) | instid1(VALU_DEP_1)
	v_mul_f64_e32 v[176:177], s[24:25], v[24:25]
	v_fma_f64 v[26:27], v[180:181], s[16:17], v[176:177]
	s_delay_alu instid0(VALU_DEP_1) | instskip(SKIP_1) | instid1(VALU_DEP_1)
	v_add_f64_e32 v[2:3], v[26:27], v[2:3]
	v_add_f64_e64 v[26:27], v[210:211], -v[248:249]
	v_mul_f64_e32 v[178:179], s[24:25], v[26:27]
	s_delay_alu instid0(VALU_DEP_1) | instskip(NEXT) | instid1(VALU_DEP_1)
	v_fma_f64 v[76:77], v[182:183], s[16:17], -v[178:179]
	v_add_f64_e32 v[8:9], v[76:77], v[8:9]
	v_add_f64_e64 v[76:77], v[18:19], -v[254:255]
	s_delay_alu instid0(VALU_DEP_1) | instskip(NEXT) | instid1(VALU_DEP_1)
	v_mul_f64_e32 v[184:185], s[26:27], v[76:77]
	v_fma_f64 v[78:79], v[188:189], s[18:19], v[184:185]
	s_delay_alu instid0(VALU_DEP_1) | instskip(SKIP_2) | instid1(VALU_DEP_2)
	v_add_f64_e32 v[84:85], v[78:79], v[2:3]
	v_add_f64_e64 v[2:3], v[16:17], -v[252:253]
	v_dual_mov_b32 v16, v18 :: v_dual_mov_b32 v17, v19
	v_mul_f64_e32 v[186:187], s[26:27], v[2:3]
	s_delay_alu instid0(VALU_DEP_1) | instskip(NEXT) | instid1(VALU_DEP_1)
	v_fma_f64 v[78:79], v[190:191], s[18:19], -v[186:187]
	v_add_f64_e32 v[86:87], v[78:79], v[8:9]
	v_mul_f64_e32 v[8:9], s[28:29], v[0:1]
	scratch_store_b128 off, v[84:87], off offset:132 ; 16-byte Folded Spill
	v_fma_f64 v[78:79], v[154:155], s[12:13], -v[8:9]
	v_mul_f64_e32 v[84:85], s[24:25], v[4:5]
	v_fma_f64 v[8:9], v[154:155], s[12:13], v[8:9]
	s_delay_alu instid0(VALU_DEP_3) | instskip(NEXT) | instid1(VALU_DEP_3)
	v_add_f64_e32 v[78:79], v[232:233], v[78:79]
	v_fma_f64 v[86:87], v[158:159], s[16:17], -v[84:85]
	s_delay_alu instid0(VALU_DEP_3) | instskip(SKIP_1) | instid1(VALU_DEP_3)
	v_add_f64_e32 v[8:9], v[232:233], v[8:9]
	v_fma_f64 v[84:85], v[158:159], s[16:17], v[84:85]
	v_add_f64_e32 v[78:79], v[86:87], v[78:79]
	v_mul_f64_e32 v[86:87], s[28:29], v[6:7]
	s_delay_alu instid0(VALU_DEP_3) | instskip(NEXT) | instid1(VALU_DEP_2)
	v_add_f64_e32 v[8:9], v[84:85], v[8:9]
	v_fma_f64 v[144:145], v[166:167], s[12:13], v[86:87]
	v_fma_f64 v[84:85], v[166:167], s[12:13], -v[86:87]
	v_fma_f64 v[86:87], v[164:165], s[16:17], -v[146:147]
	s_delay_alu instid0(VALU_DEP_3) | instskip(NEXT) | instid1(VALU_DEP_3)
	v_add_f64_e32 v[144:145], v[234:235], v[144:145]
	v_add_f64_e32 v[84:85], v[234:235], v[84:85]
	s_delay_alu instid0(VALU_DEP_2) | instskip(SKIP_1) | instid1(VALU_DEP_3)
	v_add_f64_e32 v[144:145], v[192:193], v[144:145]
	v_mul_f64_e32 v[192:193], s[38:39], v[12:13]
	v_add_f64_e32 v[84:85], v[86:87], v[84:85]
	s_delay_alu instid0(VALU_DEP_2) | instskip(SKIP_1) | instid1(VALU_DEP_2)
	v_fma_f64 v[194:195], v[172:173], s[18:19], -v[192:193]
	v_fma_f64 v[86:87], v[172:173], s[18:19], v[192:193]
	v_add_f64_e32 v[78:79], v[194:195], v[78:79]
	v_mul_f64_e32 v[194:195], s[38:39], v[14:15]
	s_delay_alu instid0(VALU_DEP_3) | instskip(NEXT) | instid1(VALU_DEP_2)
	v_add_f64_e32 v[8:9], v[86:87], v[8:9]
	v_fma_f64 v[196:197], v[174:175], s[18:19], v[194:195]
	v_fma_f64 v[86:87], v[174:175], s[18:19], -v[194:195]
	s_delay_alu instid0(VALU_DEP_2) | instskip(SKIP_1) | instid1(VALU_DEP_3)
	v_add_f64_e32 v[144:145], v[196:197], v[144:145]
	v_mul_f64_e32 v[196:197], s[36:37], v[24:25]
	v_add_f64_e32 v[84:85], v[86:87], v[84:85]
	s_delay_alu instid0(VALU_DEP_2) | instskip(SKIP_1) | instid1(VALU_DEP_2)
	v_fma_f64 v[198:199], v[180:181], s[14:15], -v[196:197]
	v_fma_f64 v[86:87], v[180:181], s[14:15], v[196:197]
	v_add_f64_e32 v[78:79], v[198:199], v[78:79]
	v_mul_f64_e32 v[198:199], s[36:37], v[26:27]
	s_delay_alu instid0(VALU_DEP_3) | instskip(NEXT) | instid1(VALU_DEP_2)
	v_add_f64_e32 v[8:9], v[86:87], v[8:9]
	v_fma_f64 v[200:201], v[182:183], s[14:15], v[198:199]
	v_fma_f64 v[86:87], v[182:183], s[14:15], -v[198:199]
	s_delay_alu instid0(VALU_DEP_2) | instskip(SKIP_1) | instid1(VALU_DEP_3)
	v_add_f64_e32 v[144:145], v[200:201], v[144:145]
	v_mul_f64_e32 v[200:201], s[30:31], v[76:77]
	v_add_f64_e32 v[84:85], v[86:87], v[84:85]
	s_delay_alu instid0(VALU_DEP_2) | instskip(SKIP_1) | instid1(VALU_DEP_2)
	v_fma_f64 v[202:203], v[188:189], s[0:1], -v[200:201]
	v_fma_f64 v[86:87], v[188:189], s[0:1], v[200:201]
	v_add_f64_e32 v[204:205], v[202:203], v[78:79]
	v_mul_f64_e32 v[78:79], s[30:31], v[2:3]
	s_delay_alu instid0(VALU_DEP_1) | instskip(SKIP_1) | instid1(VALU_DEP_2)
	v_fma_f64 v[202:203], v[190:191], s[0:1], v[78:79]
	v_fma_f64 v[78:79], v[190:191], s[0:1], -v[78:79]
	v_add_f64_e32 v[206:207], v[202:203], v[144:145]
	v_add_f64_e32 v[144:145], v[86:87], v[8:9]
	v_mul_f64_e32 v[8:9], s[20:21], v[0:1]
	s_delay_alu instid0(VALU_DEP_4)
	v_add_f64_e32 v[146:147], v[78:79], v[84:85]
	v_mul_f64_e32 v[84:85], s[38:39], v[4:5]
	scratch_store_b128 off, v[204:207], off offset:20 ; 16-byte Folded Spill
	v_fma_f64 v[78:79], v[154:155], s[14:15], -v[8:9]
	scratch_store_b128 off, v[144:147], off offset:84 ; 16-byte Folded Spill
	v_fma_f64 v[86:87], v[158:159], s[18:19], -v[84:85]
	v_mul_f64_e32 v[146:147], s[38:39], v[10:11]
	v_fma_f64 v[8:9], v[154:155], s[14:15], v[8:9]
	v_fma_f64 v[84:85], v[158:159], s[18:19], v[84:85]
	v_add_f64_e32 v[78:79], v[232:233], v[78:79]
	s_delay_alu instid0(VALU_DEP_4) | instskip(NEXT) | instid1(VALU_DEP_4)
	v_fma_f64 v[192:193], v[164:165], s[18:19], v[146:147]
	v_add_f64_e32 v[8:9], v[232:233], v[8:9]
	s_delay_alu instid0(VALU_DEP_3) | instskip(SKIP_1) | instid1(VALU_DEP_3)
	v_add_f64_e32 v[78:79], v[86:87], v[78:79]
	v_mul_f64_e32 v[86:87], s[20:21], v[6:7]
	v_add_f64_e32 v[8:9], v[84:85], v[8:9]
	s_delay_alu instid0(VALU_DEP_2) | instskip(SKIP_2) | instid1(VALU_DEP_3)
	v_fma_f64 v[144:145], v[166:167], s[14:15], v[86:87]
	v_fma_f64 v[84:85], v[166:167], s[14:15], -v[86:87]
	v_fma_f64 v[86:87], v[164:165], s[18:19], -v[146:147]
	v_add_f64_e32 v[144:145], v[234:235], v[144:145]
	s_delay_alu instid0(VALU_DEP_3) | instskip(NEXT) | instid1(VALU_DEP_2)
	v_add_f64_e32 v[84:85], v[234:235], v[84:85]
	v_add_f64_e32 v[144:145], v[192:193], v[144:145]
	v_mul_f64_e32 v[192:193], s[34:35], v[12:13]
	s_delay_alu instid0(VALU_DEP_3) | instskip(NEXT) | instid1(VALU_DEP_2)
	v_add_f64_e32 v[84:85], v[86:87], v[84:85]
	v_fma_f64 v[194:195], v[172:173], s[12:13], -v[192:193]
	v_fma_f64 v[86:87], v[172:173], s[12:13], v[192:193]
	s_delay_alu instid0(VALU_DEP_2) | instskip(SKIP_1) | instid1(VALU_DEP_3)
	v_add_f64_e32 v[78:79], v[194:195], v[78:79]
	v_mul_f64_e32 v[194:195], s[34:35], v[14:15]
	v_add_f64_e32 v[8:9], v[86:87], v[8:9]
	s_delay_alu instid0(VALU_DEP_2) | instskip(SKIP_1) | instid1(VALU_DEP_2)
	v_fma_f64 v[196:197], v[174:175], s[12:13], v[194:195]
	v_fma_f64 v[86:87], v[174:175], s[12:13], -v[194:195]
	v_add_f64_e32 v[144:145], v[196:197], v[144:145]
	v_mul_f64_e32 v[196:197], s[22:23], v[24:25]
	s_delay_alu instid0(VALU_DEP_3) | instskip(NEXT) | instid1(VALU_DEP_2)
	v_add_f64_e32 v[84:85], v[86:87], v[84:85]
	v_fma_f64 v[198:199], v[180:181], s[0:1], -v[196:197]
	v_fma_f64 v[86:87], v[180:181], s[0:1], v[196:197]
	s_delay_alu instid0(VALU_DEP_2) | instskip(SKIP_1) | instid1(VALU_DEP_3)
	v_add_f64_e32 v[78:79], v[198:199], v[78:79]
	v_mul_f64_e32 v[198:199], s[22:23], v[26:27]
	v_add_f64_e32 v[8:9], v[86:87], v[8:9]
	s_delay_alu instid0(VALU_DEP_2) | instskip(SKIP_1) | instid1(VALU_DEP_2)
	v_fma_f64 v[200:201], v[182:183], s[0:1], v[198:199]
	v_fma_f64 v[86:87], v[182:183], s[0:1], -v[198:199]
	v_add_f64_e32 v[144:145], v[200:201], v[144:145]
	v_mul_f64_e32 v[200:201], s[24:25], v[76:77]
	s_delay_alu instid0(VALU_DEP_3) | instskip(NEXT) | instid1(VALU_DEP_2)
	v_add_f64_e32 v[84:85], v[86:87], v[84:85]
	v_fma_f64 v[202:203], v[188:189], s[16:17], -v[200:201]
	v_fma_f64 v[86:87], v[188:189], s[16:17], v[200:201]
	s_delay_alu instid0(VALU_DEP_2) | instskip(SKIP_1) | instid1(VALU_DEP_1)
	v_add_f64_e32 v[204:205], v[202:203], v[78:79]
	v_mul_f64_e32 v[78:79], s[24:25], v[2:3]
	v_fma_f64 v[202:203], v[190:191], s[16:17], v[78:79]
	v_fma_f64 v[78:79], v[190:191], s[16:17], -v[78:79]
	s_delay_alu instid0(VALU_DEP_2) | instskip(SKIP_2) | instid1(VALU_DEP_4)
	v_add_f64_e32 v[206:207], v[202:203], v[144:145]
	v_add_f64_e32 v[144:145], v[86:87], v[8:9]
	v_mul_f64_e32 v[8:9], s[24:25], v[0:1]
	v_add_f64_e32 v[146:147], v[78:79], v[84:85]
	v_mul_f64_e32 v[84:85], s[36:37], v[4:5]
	v_mul_f64_e32 v[0:1], s[26:27], v[0:1]
	;; [unrolled: 1-line block ×3, first 2 shown]
	scratch_store_b128 off, v[204:207], off offset:4 ; 16-byte Folded Spill
	v_fma_f64 v[78:79], v[154:155], s[16:17], -v[8:9]
	scratch_store_b128 off, v[144:147], off offset:36 ; 16-byte Folded Spill
	v_fma_f64 v[86:87], v[158:159], s[14:15], -v[84:85]
	v_mul_f64_e32 v[146:147], s[36:37], v[10:11]
	v_fma_f64 v[8:9], v[154:155], s[16:17], v[8:9]
	v_fma_f64 v[84:85], v[158:159], s[14:15], v[84:85]
	v_mul_f64_e32 v[10:11], s[30:31], v[10:11]
	v_add_f64_e32 v[78:79], v[232:233], v[78:79]
	v_fma_f64 v[192:193], v[164:165], s[14:15], v[146:147]
	v_add_f64_e32 v[8:9], v[232:233], v[8:9]
	s_delay_alu instid0(VALU_DEP_3) | instskip(SKIP_2) | instid1(VALU_DEP_4)
	v_add_f64_e32 v[78:79], v[86:87], v[78:79]
	v_mul_f64_e32 v[86:87], s[24:25], v[6:7]
	v_mul_f64_e32 v[6:7], s[26:27], v[6:7]
	v_add_f64_e32 v[8:9], v[84:85], v[8:9]
	s_delay_alu instid0(VALU_DEP_3) | instskip(SKIP_2) | instid1(VALU_DEP_3)
	v_fma_f64 v[144:145], v[166:167], s[16:17], v[86:87]
	v_fma_f64 v[84:85], v[166:167], s[16:17], -v[86:87]
	v_fma_f64 v[86:87], v[164:165], s[14:15], -v[146:147]
	v_add_f64_e32 v[144:145], v[234:235], v[144:145]
	s_delay_alu instid0(VALU_DEP_3) | instskip(NEXT) | instid1(VALU_DEP_2)
	v_add_f64_e32 v[84:85], v[234:235], v[84:85]
	v_add_f64_e32 v[144:145], v[192:193], v[144:145]
	v_mul_f64_e32 v[192:193], s[22:23], v[12:13]
	s_delay_alu instid0(VALU_DEP_3) | instskip(SKIP_1) | instid1(VALU_DEP_3)
	v_add_f64_e32 v[84:85], v[86:87], v[84:85]
	v_mul_f64_e32 v[12:13], s[24:25], v[12:13]
	v_fma_f64 v[194:195], v[172:173], s[0:1], -v[192:193]
	v_fma_f64 v[86:87], v[172:173], s[0:1], v[192:193]
	s_delay_alu instid0(VALU_DEP_2) | instskip(SKIP_1) | instid1(VALU_DEP_3)
	v_add_f64_e32 v[78:79], v[194:195], v[78:79]
	v_mul_f64_e32 v[194:195], s[22:23], v[14:15]
	v_add_f64_e32 v[8:9], v[86:87], v[8:9]
	v_mul_f64_e32 v[14:15], s[24:25], v[14:15]
	s_delay_alu instid0(VALU_DEP_3) | instskip(SKIP_1) | instid1(VALU_DEP_2)
	v_fma_f64 v[196:197], v[174:175], s[0:1], v[194:195]
	v_fma_f64 v[86:87], v[174:175], s[0:1], -v[194:195]
	v_add_f64_e32 v[144:145], v[196:197], v[144:145]
	v_mul_f64_e32 v[196:197], s[26:27], v[24:25]
	s_delay_alu instid0(VALU_DEP_3) | instskip(SKIP_1) | instid1(VALU_DEP_3)
	v_add_f64_e32 v[84:85], v[86:87], v[84:85]
	v_mul_f64_e32 v[24:25], s[34:35], v[24:25]
	v_fma_f64 v[198:199], v[180:181], s[18:19], -v[196:197]
	v_fma_f64 v[86:87], v[180:181], s[18:19], v[196:197]
	s_delay_alu instid0(VALU_DEP_2) | instskip(SKIP_1) | instid1(VALU_DEP_3)
	v_add_f64_e32 v[78:79], v[198:199], v[78:79]
	v_mul_f64_e32 v[198:199], s[26:27], v[26:27]
	v_add_f64_e32 v[8:9], v[86:87], v[8:9]
	v_mul_f64_e32 v[26:27], s[34:35], v[26:27]
	s_delay_alu instid0(VALU_DEP_3) | instskip(SKIP_1) | instid1(VALU_DEP_2)
	v_fma_f64 v[200:201], v[182:183], s[18:19], v[198:199]
	v_fma_f64 v[86:87], v[182:183], s[18:19], -v[198:199]
	v_add_f64_e32 v[144:145], v[200:201], v[144:145]
	v_mul_f64_e32 v[200:201], s[34:35], v[76:77]
	s_delay_alu instid0(VALU_DEP_3) | instskip(SKIP_1) | instid1(VALU_DEP_3)
	v_add_f64_e32 v[84:85], v[86:87], v[84:85]
	v_mul_f64_e32 v[76:77], s[20:21], v[76:77]
	v_fma_f64 v[202:203], v[188:189], s[12:13], -v[200:201]
	v_fma_f64 v[86:87], v[188:189], s[12:13], v[200:201]
	s_delay_alu instid0(VALU_DEP_2) | instskip(SKIP_2) | instid1(VALU_DEP_2)
	v_add_f64_e32 v[204:205], v[202:203], v[78:79]
	v_mul_f64_e32 v[78:79], s[34:35], v[2:3]
	v_mul_f64_e32 v[2:3], s[20:21], v[2:3]
	v_fma_f64 v[202:203], v[190:191], s[12:13], v[78:79]
	v_fma_f64 v[78:79], v[190:191], s[12:13], -v[78:79]
	s_delay_alu instid0(VALU_DEP_2) | instskip(SKIP_2) | instid1(VALU_DEP_4)
	v_add_f64_e32 v[206:207], v[202:203], v[144:145]
	v_add_f64_e32 v[144:145], v[86:87], v[8:9]
	v_fma_f64 v[8:9], v[154:155], s[18:19], -v[0:1]
	v_add_f64_e32 v[146:147], v[78:79], v[84:85]
	v_fma_f64 v[78:79], v[158:159], s[0:1], -v[4:5]
	v_fma_f64 v[0:1], v[154:155], s[18:19], v[0:1]
	v_fma_f64 v[4:5], v[158:159], s[0:1], v[4:5]
	;; [unrolled: 1-line block ×3, first 2 shown]
	scratch_store_b128 off, v[204:207], off offset:52 ; 16-byte Folded Spill
	v_add_f64_e32 v[8:9], v[232:233], v[8:9]
	scratch_store_b128 off, v[144:147], off offset:68 ; 16-byte Folded Spill
	v_add_f64_e32 v[0:1], v[232:233], v[0:1]
	v_add_f64_e32 v[8:9], v[78:79], v[8:9]
	v_fma_f64 v[78:79], v[166:167], s[18:19], v[6:7]
	s_delay_alu instid0(VALU_DEP_3) | instskip(SKIP_2) | instid1(VALU_DEP_4)
	v_add_f64_e32 v[0:1], v[4:5], v[0:1]
	v_fma_f64 v[4:5], v[166:167], s[18:19], -v[6:7]
	v_fma_f64 v[6:7], v[164:165], s[0:1], -v[10:11]
	v_add_f64_e32 v[78:79], v[234:235], v[78:79]
	s_delay_alu instid0(VALU_DEP_3) | instskip(NEXT) | instid1(VALU_DEP_2)
	v_add_f64_e32 v[4:5], v[234:235], v[4:5]
	v_add_f64_e32 v[78:79], v[84:85], v[78:79]
	v_fma_f64 v[84:85], v[172:173], s[16:17], -v[12:13]
	s_delay_alu instid0(VALU_DEP_3) | instskip(SKIP_1) | instid1(VALU_DEP_3)
	v_add_f64_e32 v[4:5], v[6:7], v[4:5]
	v_fma_f64 v[6:7], v[172:173], s[16:17], v[12:13]
	v_add_f64_e32 v[8:9], v[84:85], v[8:9]
	v_fma_f64 v[84:85], v[174:175], s[16:17], v[14:15]
	s_delay_alu instid0(VALU_DEP_3) | instskip(SKIP_1) | instid1(VALU_DEP_3)
	v_add_f64_e32 v[0:1], v[6:7], v[0:1]
	v_fma_f64 v[6:7], v[174:175], s[16:17], -v[14:15]
	v_add_f64_e32 v[78:79], v[84:85], v[78:79]
	v_fma_f64 v[84:85], v[180:181], s[12:13], -v[24:25]
	s_delay_alu instid0(VALU_DEP_3) | instskip(SKIP_1) | instid1(VALU_DEP_3)
	v_add_f64_e32 v[4:5], v[6:7], v[4:5]
	v_fma_f64 v[6:7], v[180:181], s[12:13], v[24:25]
	v_add_f64_e32 v[8:9], v[84:85], v[8:9]
	v_fma_f64 v[84:85], v[182:183], s[12:13], v[26:27]
	s_delay_alu instid0(VALU_DEP_3) | instskip(SKIP_1) | instid1(VALU_DEP_3)
	v_add_f64_e32 v[0:1], v[6:7], v[0:1]
	v_fma_f64 v[6:7], v[182:183], s[12:13], -v[26:27]
	v_add_f64_e32 v[78:79], v[84:85], v[78:79]
	v_fma_f64 v[84:85], v[188:189], s[14:15], -v[76:77]
	s_delay_alu instid0(VALU_DEP_3) | instskip(SKIP_1) | instid1(VALU_DEP_3)
	v_add_f64_e32 v[4:5], v[6:7], v[4:5]
	v_fma_f64 v[6:7], v[188:189], s[14:15], v[76:77]
	v_add_f64_e32 v[84:85], v[84:85], v[8:9]
	v_fma_f64 v[8:9], v[190:191], s[14:15], v[2:3]
	v_fma_f64 v[2:3], v[190:191], s[14:15], -v[2:3]
	s_delay_alu instid0(VALU_DEP_4) | instskip(NEXT) | instid1(VALU_DEP_3)
	v_add_f64_e32 v[0:1], v[6:7], v[0:1]
	v_add_f64_e32 v[86:87], v[8:9], v[78:79]
	s_delay_alu instid0(VALU_DEP_3)
	v_add_f64_e32 v[2:3], v[2:3], v[4:5]
	s_clause 0x1
	scratch_store_b128 off, v[84:87], off offset:116
	scratch_store_b128 off, v[0:3], off offset:100
	s_clause 0x1
	scratch_load_b32 v0, off, off offset:784 th:TH_LOAD_LU
	scratch_load_b32 v1, off, off offset:820 th:TH_LOAD_LU
	global_wb scope:SCOPE_SE
	s_wait_loadcnt 0x0
	s_wait_storecnt 0x0
	s_barrier_signal -1
	s_barrier_wait -1
	global_inv scope:SCOPE_SE
	v_and_b32_e32 v0, 0xffff, v0
	s_delay_alu instid0(VALU_DEP_1) | instskip(NEXT) | instid1(VALU_DEP_1)
	v_mul_u32_u24_e32 v0, 0x4d, v0
	v_add_lshl_u32 v0, v0, v1, 4
	scratch_load_b128 v[1:4], off, off offset:984 th:TH_LOAD_LU ; 16-byte Folded Reload
	ds_store_b128 v0, v[236:239]
	s_wait_loadcnt 0x0
	ds_store_b128 v0, v[1:4] offset:112
	ds_store_b128 v0, v[36:39] offset:224
	;; [unrolled: 1-line block ×8, first 2 shown]
	scratch_load_b128 v[1:4], off, off offset:1000 th:TH_LOAD_LU ; 16-byte Folded Reload
	scratch_store_b32 off, v0, off offset:2116 ; 4-byte Folded Spill
	s_wait_loadcnt 0x0
	ds_store_b128 v0, v[1:4] offset:1008
	scratch_load_b128 v[1:4], off, off offset:968 th:TH_LOAD_LU ; 16-byte Folded Reload
	s_wait_loadcnt 0x0
	ds_store_b128 v0, v[1:4] offset:1120
	s_clause 0x1
	scratch_load_b32 v0, off, off offset:836 th:TH_LOAD_LU
	scratch_load_b32 v1, off, off offset:852 th:TH_LOAD_LU
	s_wait_loadcnt 0x1
	v_and_b32_e32 v0, 0xffff, v0
	s_delay_alu instid0(VALU_DEP_1) | instskip(SKIP_1) | instid1(VALU_DEP_1)
	v_mul_u32_u24_e32 v0, 0x4d, v0
	s_wait_loadcnt 0x0
	v_add_lshl_u32 v0, v0, v1, 4
	ds_store_b128 v0, v[120:123]
	ds_store_b128 v0, v[68:71] offset:112
	ds_store_b128 v0, v[240:243] offset:224
	ds_store_b128 v0, v[244:247] offset:336
	ds_store_b128 v0, v[112:115] offset:448
	ds_store_b128 v0, v[124:127] offset:560
	ds_store_b128 v0, v[148:151] offset:672
	ds_store_b128 v0, v[116:119] offset:784
	ds_store_b128 v0, v[80:83] offset:896
	ds_store_b128 v0, v[72:75] offset:1008
	scratch_store_b32 off, v0, off offset:2120 ; 4-byte Folded Spill
	ds_store_b128 v0, v[64:67] offset:1120
	s_clause 0x1
	scratch_load_b32 v0, off, off offset:868 th:TH_LOAD_LU
	scratch_load_b32 v1, off, off offset:904 th:TH_LOAD_LU
	s_wait_loadcnt 0x1
	v_and_b32_e32 v0, 0xffff, v0
	s_delay_alu instid0(VALU_DEP_1) | instskip(SKIP_1) | instid1(VALU_DEP_1)
	v_mul_u32_u24_e32 v0, 0x4d, v0
	s_wait_loadcnt 0x0
	v_add_lshl_u32 v223, v0, v1, 4
	ds_store_b128 v223, v[136:139]
	ds_store_b128 v223, v[88:91] offset:112
	ds_store_b128 v223, v[96:99] offset:224
	;; [unrolled: 1-line block ×10, first 2 shown]
	scratch_load_b32 v0, off, off offset:884 th:TH_LOAD_LU ; 4-byte Folded Reload
	s_wait_loadcnt 0x0
	v_and_b32_e32 v0, 0xffff, v0
	scratch_store_b32 off, v0, off offset:784 ; 4-byte Folded Spill
	s_and_saveexec_b32 s20, vcc_lo
	s_cbranch_execz .LBB0_5
; %bb.4:
	v_mul_f64_e32 v[6:7], s[0:1], v[154:155]
	v_mul_f64_e32 v[10:11], s[12:13], v[158:159]
	;; [unrolled: 1-line block ×3, first 2 shown]
	v_add_f64_e32 v[0:1], v[234:235], v[226:227]
	v_add_f64_e32 v[2:3], v[232:233], v[208:209]
	v_mul_f64_e32 v[4:5], s[0:1], v[166:167]
	v_mul_f64_e32 v[8:9], s[12:13], v[164:165]
	;; [unrolled: 1-line block ×4, first 2 shown]
	v_add_f64_e64 v[6:7], v[6:7], -v[152:153]
	v_add_f64_e64 v[10:11], v[10:11], -v[156:157]
	;; [unrolled: 1-line block ×3, first 2 shown]
	v_add_f64_e32 v[0:1], v[0:1], v[218:219]
	v_add_f64_e32 v[2:3], v[2:3], v[212:213]
	;; [unrolled: 1-line block ×10, first 2 shown]
	s_delay_alu instid0(VALU_DEP_4)
	v_add_f64_e32 v[6:7], v[10:11], v[6:7]
	v_mul_f64_e32 v[10:11], s[18:19], v[190:191]
	v_add_f64_e32 v[0:1], v[0:1], v[214:215]
	v_add_f64_e32 v[2:3], v[2:3], v[210:211]
	;; [unrolled: 1-line block ×3, first 2 shown]
	v_mul_f64_e32 v[8:9], s[18:19], v[188:189]
	v_add_f64_e32 v[6:7], v[12:13], v[6:7]
	scratch_load_b64 v[12:13], off, off offset:196 th:TH_LOAD_LU ; 8-byte Folded Reload
	v_add_f64_e32 v[10:11], v[186:187], v[10:11]
	v_add_f64_e32 v[0:1], v[0:1], v[16:17]
	;; [unrolled: 1-line block ×3, first 2 shown]
	v_mul_f64_e32 v[16:17], s[16:17], v[180:181]
	v_add_f64_e32 v[4:5], v[14:15], v[4:5]
	v_add_f64_e64 v[8:9], v[8:9], -v[184:185]
	v_add_f64_e32 v[0:1], v[0:1], v[254:255]
	v_add_f64_e32 v[2:3], v[2:3], v[252:253]
	v_add_f64_e64 v[16:17], v[16:17], -v[176:177]
	v_add_f64_e32 v[4:5], v[18:19], v[4:5]
	s_delay_alu instid0(VALU_DEP_4) | instskip(NEXT) | instid1(VALU_DEP_4)
	v_add_f64_e32 v[0:1], v[0:1], v[250:251]
	v_add_f64_e32 v[2:3], v[2:3], v[248:249]
	s_delay_alu instid0(VALU_DEP_4) | instskip(NEXT) | instid1(VALU_DEP_3)
	v_add_f64_e32 v[6:7], v[16:17], v[6:7]
	v_add_f64_e32 v[0:1], v[0:1], v[230:231]
	s_delay_alu instid0(VALU_DEP_3) | instskip(SKIP_1) | instid1(VALU_DEP_2)
	v_add_f64_e32 v[2:3], v[2:3], v[228:229]
	s_wait_loadcnt 0x0
	v_add_f64_e32 v[12:13], v[0:1], v[12:13]
	scratch_load_b64 v[0:1], off, off offset:164 th:TH_LOAD_LU ; 8-byte Folded Reload
	s_wait_loadcnt 0x0
	v_add_f64_e32 v[14:15], v[2:3], v[0:1]
	v_add_f64_e32 v[0:1], v[8:9], v[6:7]
	s_clause 0x1
	scratch_load_b32 v8, off, off offset:784
	scratch_load_b32 v9, off, off offset:780
	v_add_f64_e32 v[2:3], v[10:11], v[4:5]
	scratch_load_b64 v[4:5], off, off offset:180 th:TH_LOAD_LU ; 8-byte Folded Reload
	s_wait_loadcnt 0x2
	v_mul_u32_u24_e32 v8, 0x4d, v8
	s_wait_loadcnt 0x0
	v_add_f64_e32 v[6:7], v[12:13], v[4:5]
	scratch_load_b64 v[4:5], off, off offset:148 th:TH_LOAD_LU ; 8-byte Folded Reload
	v_add_lshl_u32 v8, v8, v9, 4
	scratch_load_b128 v[9:12], off, off offset:20 ; 16-byte Folded Reload
	s_wait_loadcnt 0x0
	ds_store_b128 v8, v[9:12] offset:224
	scratch_load_b128 v[9:12], off, off offset:4 ; 16-byte Folded Reload
	v_add_f64_e32 v[4:5], v[14:15], v[4:5]
	s_wait_loadcnt 0x0
	ds_store_b128 v8, v[9:12] offset:336
	scratch_load_b128 v[9:12], off, off offset:52 ; 16-byte Folded Reload
	s_wait_loadcnt 0x0
	ds_store_b128 v8, v[9:12] offset:448
	scratch_load_b128 v[9:12], off, off offset:116 ; 16-byte Folded Reload
	;; [unrolled: 3-line block ×6, first 2 shown]
	s_wait_loadcnt 0x0
	ds_store_b128 v8, v[9:12] offset:1008
	ds_store_b128 v8, v[0:3] offset:112
	ds_store_b128 v8, v[4:7]
	scratch_load_b128 v[0:3], off, off offset:132 ; 16-byte Folded Reload
	s_wait_loadcnt 0x0
	ds_store_b128 v8, v[0:3] offset:1120
.LBB0_5:
	s_wait_alu 0xfffe
	s_or_b32 exec_lo, exec_lo, s20
	scratch_load_b32 v198, off, off         ; 4-byte Folded Reload
	global_wb scope:SCOPE_SE
	s_wait_storecnt 0x0
	s_wait_loadcnt_dscnt 0x0
	s_barrier_signal -1
	s_barrier_wait -1
	global_inv scope:SCOPE_SE
	s_mov_b32 s16, 0x134454ff
	s_mov_b32 s17, 0x3fee6f0e
	;; [unrolled: 1-line block ×3, first 2 shown]
	s_wait_alu 0xfffe
	s_mov_b32 s18, s16
	s_mov_b32 s12, 0x4755a5e
	;; [unrolled: 1-line block ×4, first 2 shown]
	s_wait_alu 0xfffe
	s_mov_b32 s14, s12
	s_mov_b32 s20, 0x372fe950
	;; [unrolled: 1-line block ×5, first 2 shown]
	v_lshlrev_b32_e32 v0, 6, v198
	v_add_co_u32 v1, s1, 0xffffffea, v198
	v_cmp_gt_u16_e64 s0, 22, v198
	s_wait_alu 0xf1ff
	v_add_co_ci_u32_e64 v2, null, 0, -1, s1
	s_clause 0x1
	global_load_b128 v[48:51], v0, s[10:11] offset:1120
	global_load_b128 v[52:55], v0, s[10:11] offset:1136
	scratch_load_b32 v176, off, off offset:1436 th:TH_LOAD_LU ; 4-byte Folded Reload
	s_wait_loadcnt 0x0
	v_cndmask_b32_e64 v96, v1, v176, s0
	global_load_b128 v[64:67], v0, s[10:11] offset:1152
	scratch_load_b32 v1, off, off offset:788 th:TH_LOAD_LU ; 4-byte Folded Reload
	global_load_b128 v[60:63], v0, s[10:11] offset:1168
	s_wait_loadcnt 0x1
	v_cndmask_b32_e64 v97, v2, v1, s0
	s_delay_alu instid0(VALU_DEP_1) | instskip(NEXT) | instid1(VALU_DEP_1)
	v_lshlrev_b64_e32 v[1:2], 6, v[96:97]
	v_add_co_u32 v1, s0, s10, v1
	s_wait_alu 0xf1ff
	s_delay_alu instid0(VALU_DEP_2)
	v_add_co_ci_u32_e64 v2, s0, s11, v2, s0
	s_clause 0x2
	global_load_b128 v[56:59], v[1:2], off offset:1120
	global_load_b128 v[85:88], v[1:2], off offset:1136
	;; [unrolled: 1-line block ×3, first 2 shown]
	scratch_load_b32 v3, off, off offset:804 th:TH_LOAD_LU ; 4-byte Folded Reload
	global_load_b128 v[72:75], v[1:2], off offset:1168
	scratch_load_b32 v179, off, off offset:1548 th:TH_LOAD_LU ; 4-byte Folded Reload
	s_wait_loadcnt 0x2
	v_mul_lo_u16 v3, 0xd5, v3
	s_delay_alu instid0(VALU_DEP_1) | instskip(NEXT) | instid1(VALU_DEP_1)
	v_lshrrev_b16 v3, 14, v3
	v_mul_lo_u16 v4, 0x4d, v3
	v_and_b32_e32 v3, 0xffff, v3
	s_wait_loadcnt 0x0
	s_delay_alu instid0(VALU_DEP_2) | instskip(NEXT) | instid1(VALU_DEP_2)
	v_sub_nc_u16 v1, v179, v4
	v_mul_u32_u24_e32 v3, 0x181, v3
	s_delay_alu instid0(VALU_DEP_2) | instskip(NEXT) | instid1(VALU_DEP_1)
	v_and_b32_e32 v149, 0xff, v1
	v_lshlrev_b32_e32 v76, 6, v149
	s_delay_alu instid0(VALU_DEP_3)
	v_add_lshl_u32 v3, v3, v149, 4
	s_clause 0x2
	global_load_b128 v[81:84], v76, s[10:11] offset:1120
	global_load_b128 v[68:71], v76, s[10:11] offset:1136
	global_load_b128 v[89:92], v76, s[10:11] offset:1152
	ds_load_b128 v[4:7], v220 offset:6160
	ds_load_b128 v[20:23], v220 offset:12320
	ds_load_b128 v[24:27], v220 offset:18480
	ds_load_b128 v[28:31], v220 offset:24640
	ds_load_b128 v[32:35], v220 offset:7040
	scratch_store_b128 off, v[52:55], off offset:788 ; 16-byte Folded Spill
	ds_load_b128 v[40:43], v220 offset:19360
	s_clause 0x5
	scratch_store_b128 off, v[48:51], off offset:148
	scratch_store_b128 off, v[56:59], off offset:164
	;; [unrolled: 1-line block ×6, first 2 shown]
	ds_load_b128 v[36:39], v220 offset:13200
	scratch_store_b128 off, v[85:88], off offset:868 ; 16-byte Folded Spill
	s_clause 0x1
	scratch_load_b32 v178, off, off offset:1612 th:TH_LOAD_LU
	scratch_load_b32 v177, off, off offset:1740 th:TH_LOAD_LU
	s_wait_dscnt 0x6
	v_mul_f64_e32 v[1:2], v[6:7], v[50:51]
	v_mul_f64_e32 v[8:9], v[4:5], v[50:51]
	s_wait_dscnt 0x5
	v_mul_f64_e32 v[10:11], v[22:23], v[54:55]
	v_mul_f64_e32 v[12:13], v[20:21], v[54:55]
	;; [unrolled: 3-line block ×3, first 2 shown]
	v_fma_f64 v[46:47], v[4:5], v[48:49], -v[1:2]
	v_fma_f64 v[8:9], v[6:7], v[48:49], v[8:9]
	v_fma_f64 v[10:11], v[20:21], v[52:53], -v[10:11]
	v_fma_f64 v[12:13], v[22:23], v[52:53], v[12:13]
	ds_load_b128 v[4:7], v220 offset:25520
	s_wait_dscnt 0x4
	v_mul_f64_e32 v[18:19], v[30:31], v[62:63]
	v_mul_f64_e32 v[44:45], v[28:29], v[62:63]
	ds_load_b128 v[20:23], v220 offset:7920
	s_wait_dscnt 0x4
	v_mul_f64_e32 v[1:2], v[34:35], v[58:59]
	v_mul_f64_e32 v[48:49], v[32:33], v[58:59]
	v_fma_f64 v[14:15], v[24:25], v[64:65], -v[14:15]
	v_fma_f64 v[16:17], v[26:27], v[64:65], v[16:17]
	v_fma_f64 v[18:19], v[28:29], v[60:61], -v[18:19]
	v_fma_f64 v[28:29], v[30:31], v[60:61], v[44:45]
	s_wait_dscnt 0x1
	v_mul_f64_e32 v[30:31], v[4:5], v[74:75]
	v_fma_f64 v[54:55], v[32:33], v[56:57], -v[1:2]
	v_mul_f64_e32 v[1:2], v[6:7], v[74:75]
	v_fma_f64 v[48:49], v[34:35], v[56:57], v[48:49]
	v_add_f64_e64 v[34:35], v[8:9], -v[28:29]
	v_fma_f64 v[62:63], v[6:7], v[72:73], v[30:31]
	s_delay_alu instid0(VALU_DEP_4) | instskip(SKIP_3) | instid1(VALU_DEP_2)
	v_fma_f64 v[60:61], v[4:5], v[72:73], -v[1:2]
	ds_load_b128 v[4:7], v220 offset:14080
	v_mul_f64_e32 v[24:25], v[42:43], v[79:80]
	v_mul_f64_e32 v[26:27], v[40:41], v[79:80]
	v_fma_f64 v[56:57], v[40:41], v[77:78], -v[24:25]
	s_delay_alu instid0(VALU_DEP_2)
	v_fma_f64 v[58:59], v[42:43], v[77:78], v[26:27]
	v_add_f64_e64 v[40:41], v[10:11], -v[14:15]
	v_add_f64_e64 v[42:43], v[10:11], -v[46:47]
	s_wait_loadcnt_dscnt 0x401
	v_mul_f64_e32 v[24:25], v[22:23], v[83:84]
	v_mul_f64_e32 v[26:27], v[20:21], v[83:84]
	s_wait_loadcnt_dscnt 0x300
	v_mul_f64_e32 v[1:2], v[6:7], v[70:71]
	s_clause 0x1
	scratch_store_b128 off, v[68:71], off offset:804
	scratch_store_b128 off, v[81:84], off offset:852
	v_fma_f64 v[66:67], v[20:21], v[81:82], -v[24:25]
	v_mul_f64_e32 v[20:21], v[4:5], v[70:71]
	v_fma_f64 v[64:65], v[22:23], v[81:82], v[26:27]
	v_fma_f64 v[74:75], v[4:5], v[68:69], -v[1:2]
	v_add_f64_e64 v[80:81], v[54:55], -v[60:61]
	s_delay_alu instid0(VALU_DEP_4)
	v_fma_f64 v[68:69], v[6:7], v[68:69], v[20:21]
	global_load_b128 v[20:23], v76, s[10:11] offset:1168
	ds_load_b128 v[4:7], v220 offset:20240
	s_wait_loadcnt 0x3
	scratch_store_b128 off, v[89:92], off offset:884 ; 16-byte Folded Spill
	s_wait_dscnt 0x0
	v_mul_f64_e32 v[1:2], v[6:7], v[91:92]
	s_delay_alu instid0(VALU_DEP_1) | instskip(SKIP_1) | instid1(VALU_DEP_2)
	v_fma_f64 v[72:73], v[4:5], v[89:90], -v[1:2]
	v_mul_f64_e32 v[1:2], v[4:5], v[91:92]
	v_add_f64_e64 v[158:159], v[74:75], -v[72:73]
	s_delay_alu instid0(VALU_DEP_2)
	v_fma_f64 v[70:71], v[6:7], v[89:90], v[1:2]
	ds_load_b128 v[4:7], v220 offset:26400
	s_wait_loadcnt 0x0
	scratch_store_b128 off, v[20:23], off offset:904 ; 16-byte Folded Spill
	s_wait_dscnt 0x0
	v_mul_f64_e32 v[1:2], v[6:7], v[22:23]
	s_delay_alu instid0(VALU_DEP_1) | instskip(SKIP_1) | instid1(VALU_DEP_2)
	v_fma_f64 v[76:77], v[4:5], v[20:21], -v[1:2]
	v_mul_f64_e32 v[1:2], v[4:5], v[22:23]
	v_add_f64_e64 v[156:157], v[66:67], -v[76:77]
	s_delay_alu instid0(VALU_DEP_2) | instskip(SKIP_4) | instid1(VALU_DEP_2)
	v_fma_f64 v[78:79], v[6:7], v[20:21], v[1:2]
	scratch_load_b32 v1, off, off offset:920 th:TH_LOAD_LU ; 4-byte Folded Reload
	ds_load_b128 v[4:7], v220 offset:8800
	v_mul_f64_e32 v[50:51], v[38:39], v[87:88]
	v_mul_f64_e32 v[52:53], v[36:37], v[87:88]
	v_fma_f64 v[50:51], v[36:37], v[85:86], -v[50:51]
	s_delay_alu instid0(VALU_DEP_2) | instskip(SKIP_2) | instid1(VALU_DEP_4)
	v_fma_f64 v[52:53], v[38:39], v[85:86], v[52:53]
	v_add_f64_e64 v[38:39], v[46:47], -v[18:19]
	v_add_f64_e64 v[36:37], v[12:13], -v[16:17]
	;; [unrolled: 1-line block ×3, first 2 shown]
	s_wait_loadcnt 0x0
	v_mul_lo_u16 v1, 0xd5, v1
	s_delay_alu instid0(VALU_DEP_1) | instskip(NEXT) | instid1(VALU_DEP_1)
	v_lshrrev_b16 v1, 14, v1
	v_mul_lo_u16 v1, 0x4d, v1
	s_delay_alu instid0(VALU_DEP_1) | instskip(NEXT) | instid1(VALU_DEP_1)
	v_sub_nc_u16 v1, v178, v1
	v_and_b32_e32 v151, 0xff, v1
	s_delay_alu instid0(VALU_DEP_1)
	v_lshlrev_b32_e32 v20, 6, v151
	global_load_b128 v[21:24], v20, s[10:11] offset:1120
	s_wait_loadcnt_dscnt 0x0
	v_mul_f64_e32 v[1:2], v[6:7], v[23:24]
	scratch_store_b128 off, v[21:24], off offset:920 ; 16-byte Folded Spill
	v_fma_f64 v[86:87], v[4:5], v[21:22], -v[1:2]
	v_mul_f64_e32 v[1:2], v[4:5], v[23:24]
	s_delay_alu instid0(VALU_DEP_1)
	v_fma_f64 v[84:85], v[6:7], v[21:22], v[1:2]
	global_load_b128 v[21:24], v20, s[10:11] offset:1136
	ds_load_b128 v[4:7], v220 offset:14960
	s_wait_loadcnt_dscnt 0x0
	v_mul_f64_e32 v[1:2], v[6:7], v[23:24]
	scratch_store_b128 off, v[21:24], off offset:936 ; 16-byte Folded Spill
	v_fma_f64 v[92:93], v[4:5], v[21:22], -v[1:2]
	v_mul_f64_e32 v[1:2], v[4:5], v[23:24]
	s_delay_alu instid0(VALU_DEP_1)
	v_fma_f64 v[88:89], v[6:7], v[21:22], v[1:2]
	global_load_b128 v[21:24], v20, s[10:11] offset:1152
	ds_load_b128 v[4:7], v220 offset:21120
	s_wait_loadcnt_dscnt 0x0
	v_mul_f64_e32 v[1:2], v[6:7], v[23:24]
	scratch_store_b128 off, v[21:24], off offset:952 ; 16-byte Folded Spill
	v_fma_f64 v[94:95], v[4:5], v[21:22], -v[1:2]
	v_mul_f64_e32 v[1:2], v[4:5], v[23:24]
	s_delay_alu instid0(VALU_DEP_2) | instskip(NEXT) | instid1(VALU_DEP_2)
	v_add_f64_e64 v[162:163], v[92:93], -v[94:95]
	v_fma_f64 v[90:91], v[6:7], v[21:22], v[1:2]
	global_load_b128 v[20:23], v20, s[10:11] offset:1168
	ds_load_b128 v[4:7], v220 offset:27280
	s_wait_loadcnt_dscnt 0x0
	v_mul_f64_e32 v[1:2], v[6:7], v[22:23]
	scratch_store_b128 off, v[20:23], off offset:968 ; 16-byte Folded Spill
	v_fma_f64 v[145:146], v[4:5], v[20:21], -v[1:2]
	v_mul_f64_e32 v[1:2], v[4:5], v[22:23]
	s_delay_alu instid0(VALU_DEP_2) | instskip(NEXT) | instid1(VALU_DEP_2)
	v_add_f64_e64 v[160:161], v[86:87], -v[145:146]
	v_fma_f64 v[147:148], v[6:7], v[20:21], v[1:2]
	v_and_b32_e32 v1, 0xffff, v177
	ds_load_b128 v[4:7], v220 offset:9680
	v_mul_u32_u24_e32 v1, 0x1a99, v1
	s_delay_alu instid0(VALU_DEP_1) | instskip(NEXT) | instid1(VALU_DEP_1)
	v_lshrrev_b32_e32 v150, 19, v1
	v_mul_lo_u16 v1, 0x4d, v150
	s_delay_alu instid0(VALU_DEP_1) | instskip(NEXT) | instid1(VALU_DEP_1)
	v_sub_nc_u16 v152, v177, v1
	v_lshlrev_b16 v1, 6, v152
	s_delay_alu instid0(VALU_DEP_1) | instskip(NEXT) | instid1(VALU_DEP_1)
	v_and_b32_e32 v1, 0xffff, v1
	v_add_co_u32 v1, s0, s10, v1
	s_wait_alu 0xf1ff
	v_add_co_ci_u32_e64 v2, null, s11, 0, s0
	global_load_b128 v[22:25], v[1:2], off offset:1120
	s_wait_loadcnt_dscnt 0x0
	v_mul_f64_e32 v[20:21], v[6:7], v[24:25]
	scratch_store_b128 off, v[22:25], off offset:984 ; 16-byte Folded Spill
	v_fma_f64 v[131:132], v[4:5], v[22:23], -v[20:21]
	v_mul_f64_e32 v[4:5], v[4:5], v[24:25]
	s_delay_alu instid0(VALU_DEP_1)
	v_fma_f64 v[129:130], v[6:7], v[22:23], v[4:5]
	global_load_b128 v[22:25], v[1:2], off offset:1136
	ds_load_b128 v[4:7], v220 offset:15840
	s_wait_loadcnt_dscnt 0x0
	v_mul_f64_e32 v[20:21], v[6:7], v[24:25]
	scratch_store_b128 off, v[22:25], off offset:1000 ; 16-byte Folded Spill
	v_fma_f64 v[135:136], v[4:5], v[22:23], -v[20:21]
	v_mul_f64_e32 v[4:5], v[4:5], v[24:25]
	s_delay_alu instid0(VALU_DEP_1)
	v_fma_f64 v[133:134], v[6:7], v[22:23], v[4:5]
	global_load_b128 v[22:25], v[1:2], off offset:1152
	ds_load_b128 v[4:7], v220 offset:22000
	s_wait_loadcnt_dscnt 0x0
	v_mul_f64_e32 v[20:21], v[6:7], v[24:25]
	scratch_store_b128 off, v[22:25], off offset:1016 ; 16-byte Folded Spill
	v_fma_f64 v[139:140], v[4:5], v[22:23], -v[20:21]
	v_mul_f64_e32 v[4:5], v[4:5], v[24:25]
	s_delay_alu instid0(VALU_DEP_2) | instskip(NEXT) | instid1(VALU_DEP_2)
	v_add_f64_e64 v[166:167], v[135:136], -v[139:140]
	v_fma_f64 v[137:138], v[6:7], v[22:23], v[4:5]
	global_load_b128 v[20:23], v[1:2], off offset:1168
	ds_load_b128 v[4:7], v220 offset:28160
	s_wait_loadcnt_dscnt 0x0
	v_mul_f64_e32 v[1:2], v[6:7], v[22:23]
	scratch_store_b128 off, v[20:23], off offset:1032 ; 16-byte Folded Spill
	v_fma_f64 v[141:142], v[4:5], v[20:21], -v[1:2]
	v_mul_f64_e32 v[1:2], v[4:5], v[22:23]
	s_delay_alu instid0(VALU_DEP_2) | instskip(NEXT) | instid1(VALU_DEP_2)
	v_add_f64_e64 v[164:165], v[131:132], -v[141:142]
	v_fma_f64 v[143:144], v[6:7], v[20:21], v[1:2]
	v_add_co_u32 v2, null, 0x113, v198
	ds_load_b128 v[4:7], v220 offset:10560
	v_and_b32_e32 v1, 0xffff, v2
	s_delay_alu instid0(VALU_DEP_1) | instskip(NEXT) | instid1(VALU_DEP_1)
	v_mul_u32_u24_e32 v1, 0x1a99, v1
	v_lshrrev_b32_e32 v153, 19, v1
	s_delay_alu instid0(VALU_DEP_1) | instskip(NEXT) | instid1(VALU_DEP_1)
	v_mul_lo_u16 v1, 0x4d, v153
	v_sub_nc_u16 v154, v2, v1
	s_delay_alu instid0(VALU_DEP_1) | instskip(NEXT) | instid1(VALU_DEP_1)
	v_lshlrev_b16 v1, 6, v154
	v_and_b32_e32 v1, 0xffff, v1
	s_delay_alu instid0(VALU_DEP_1)
	v_add_co_u32 v20, s0, s10, v1
	s_wait_alu 0xf1ff
	v_add_co_ci_u32_e64 v21, null, s11, 0, s0
	v_add_co_u32 v1, null, 0x14a, v198
	global_load_b128 v[24:27], v[20:21], off offset:1120
	s_wait_loadcnt_dscnt 0x0
	v_mul_f64_e32 v[22:23], v[6:7], v[26:27]
	scratch_store_b128 off, v[24:27], off offset:1072 ; 16-byte Folded Spill
	v_fma_f64 v[115:116], v[4:5], v[24:25], -v[22:23]
	v_mul_f64_e32 v[4:5], v[4:5], v[26:27]
	s_delay_alu instid0(VALU_DEP_1)
	v_fma_f64 v[113:114], v[6:7], v[24:25], v[4:5]
	global_load_b128 v[24:27], v[20:21], off offset:1136
	ds_load_b128 v[4:7], v220 offset:16720
	s_wait_loadcnt_dscnt 0x0
	v_mul_f64_e32 v[22:23], v[6:7], v[26:27]
	scratch_store_b128 off, v[24:27], off offset:1104 ; 16-byte Folded Spill
	v_fma_f64 v[121:122], v[4:5], v[24:25], -v[22:23]
	v_mul_f64_e32 v[4:5], v[4:5], v[26:27]
	s_delay_alu instid0(VALU_DEP_1)
	v_fma_f64 v[117:118], v[6:7], v[24:25], v[4:5]
	global_load_b128 v[24:27], v[20:21], off offset:1152
	ds_load_b128 v[4:7], v220 offset:22880
	s_wait_loadcnt_dscnt 0x0
	v_mul_f64_e32 v[22:23], v[6:7], v[26:27]
	scratch_store_b128 off, v[24:27], off offset:1120 ; 16-byte Folded Spill
	v_fma_f64 v[123:124], v[4:5], v[24:25], -v[22:23]
	v_mul_f64_e32 v[4:5], v[4:5], v[26:27]
	s_delay_alu instid0(VALU_DEP_2) | instskip(NEXT) | instid1(VALU_DEP_2)
	v_add_f64_e64 v[170:171], v[121:122], -v[123:124]
	v_fma_f64 v[119:120], v[6:7], v[24:25], v[4:5]
	global_load_b128 v[22:25], v[20:21], off offset:1168
	ds_load_b128 v[4:7], v220 offset:29040
	s_wait_loadcnt_dscnt 0x0
	v_mul_f64_e32 v[20:21], v[6:7], v[24:25]
	scratch_store_b128 off, v[22:25], off offset:1136 ; 16-byte Folded Spill
	v_fma_f64 v[125:126], v[4:5], v[22:23], -v[20:21]
	v_mul_f64_e32 v[4:5], v[4:5], v[24:25]
	s_delay_alu instid0(VALU_DEP_2) | instskip(NEXT) | instid1(VALU_DEP_2)
	v_add_f64_e64 v[168:169], v[115:116], -v[125:126]
	v_fma_f64 v[127:128], v[6:7], v[22:23], v[4:5]
	v_and_b32_e32 v4, 0xffff, v1
	s_delay_alu instid0(VALU_DEP_1) | instskip(NEXT) | instid1(VALU_DEP_1)
	v_mul_u32_u24_e32 v4, 0x1a99, v4
	v_lshrrev_b32_e32 v4, 19, v4
	s_delay_alu instid0(VALU_DEP_1) | instskip(NEXT) | instid1(VALU_DEP_1)
	v_mul_lo_u16 v4, 0x4d, v4
	v_sub_nc_u16 v155, v1, v4
	s_delay_alu instid0(VALU_DEP_1) | instskip(NEXT) | instid1(VALU_DEP_1)
	v_lshlrev_b16 v4, 6, v155
	v_and_b32_e32 v4, 0xffff, v4
	s_delay_alu instid0(VALU_DEP_1)
	v_add_co_u32 v20, s0, s10, v4
	s_wait_alu 0xf1ff
	v_add_co_ci_u32_e64 v21, null, s11, 0, s0
	ds_load_b128 v[4:7], v220 offset:11440
	v_cmp_lt_u16_e64 s0, 21, v198
	global_load_b128 v[24:27], v[20:21], off offset:1120
	s_wait_loadcnt_dscnt 0x0
	v_mul_f64_e32 v[22:23], v[6:7], v[26:27]
	scratch_store_b128 off, v[24:27], off offset:1168 ; 16-byte Folded Spill
	v_fma_f64 v[101:102], v[4:5], v[24:25], -v[22:23]
	v_mul_f64_e32 v[4:5], v[4:5], v[26:27]
	s_delay_alu instid0(VALU_DEP_1)
	v_fma_f64 v[97:98], v[6:7], v[24:25], v[4:5]
	global_load_b128 v[24:27], v[20:21], off offset:1136
	ds_load_b128 v[4:7], v220 offset:17600
	s_wait_loadcnt_dscnt 0x0
	v_mul_f64_e32 v[22:23], v[6:7], v[26:27]
	scratch_store_b128 off, v[24:27], off offset:1204 ; 16-byte Folded Spill
	v_fma_f64 v[105:106], v[4:5], v[24:25], -v[22:23]
	v_mul_f64_e32 v[4:5], v[4:5], v[26:27]
	s_delay_alu instid0(VALU_DEP_1)
	v_fma_f64 v[99:100], v[6:7], v[24:25], v[4:5]
	global_load_b128 v[24:27], v[20:21], off offset:1152
	ds_load_b128 v[4:7], v220 offset:23760
	s_wait_loadcnt_dscnt 0x0
	v_mul_f64_e32 v[22:23], v[6:7], v[26:27]
	scratch_store_b128 off, v[24:27], off offset:1220 ; 16-byte Folded Spill
	v_fma_f64 v[107:108], v[4:5], v[24:25], -v[22:23]
	v_mul_f64_e32 v[4:5], v[4:5], v[26:27]
	s_delay_alu instid0(VALU_DEP_2) | instskip(NEXT) | instid1(VALU_DEP_2)
	v_add_f64_e64 v[174:175], v[105:106], -v[107:108]
	v_fma_f64 v[103:104], v[6:7], v[24:25], v[4:5]
	global_load_b128 v[22:25], v[20:21], off offset:1168
	ds_load_b128 v[4:7], v220 offset:29920
	s_wait_loadcnt_dscnt 0x0
	v_mul_f64_e32 v[20:21], v[6:7], v[24:25]
	scratch_store_b128 off, v[22:25], off offset:1236 ; 16-byte Folded Spill
	v_fma_f64 v[111:112], v[4:5], v[22:23], -v[20:21]
	v_mul_f64_e32 v[4:5], v[4:5], v[24:25]
	v_add_f64_e64 v[20:21], v[28:29], -v[16:17]
	ds_load_b128 v[24:27], v220
	v_add_f64_e64 v[172:173], v[101:102], -v[111:112]
	v_fma_f64 v[109:110], v[6:7], v[22:23], v[4:5]
	v_add_f64_e64 v[4:5], v[46:47], -v[10:11]
	v_add_f64_e64 v[6:7], v[18:19], -v[14:15]
	s_delay_alu instid0(VALU_DEP_1) | instskip(SKIP_1) | instid1(VALU_DEP_1)
	v_add_f64_e32 v[4:5], v[4:5], v[6:7]
	v_add_f64_e64 v[6:7], v[8:9], -v[12:13]
	v_add_f64_e32 v[6:7], v[6:7], v[20:21]
	v_add_f64_e32 v[20:21], v[10:11], v[14:15]
	s_wait_dscnt 0x0
	s_delay_alu instid0(VALU_DEP_1) | instskip(SKIP_1) | instid1(VALU_DEP_1)
	v_fma_f64 v[30:31], v[20:21], -0.5, v[24:25]
	v_add_f64_e32 v[20:21], v[12:13], v[16:17]
	v_fma_f64 v[32:33], v[20:21], -0.5, v[26:27]
	s_delay_alu instid0(VALU_DEP_3) | instskip(SKIP_1) | instid1(VALU_DEP_3)
	v_fma_f64 v[20:21], v[34:35], s[16:17], v[30:31]
	v_fma_f64 v[30:31], v[34:35], s[18:19], v[30:31]
	;; [unrolled: 1-line block ×4, first 2 shown]
	s_delay_alu instid0(VALU_DEP_4) | instskip(SKIP_1) | instid1(VALU_DEP_4)
	v_fma_f64 v[20:21], v[36:37], s[12:13], v[20:21]
	s_wait_alu 0xfffe
	v_fma_f64 v[30:31], v[36:37], s[14:15], v[30:31]
	s_delay_alu instid0(VALU_DEP_4) | instskip(NEXT) | instid1(VALU_DEP_4)
	v_fma_f64 v[22:23], v[40:41], s[14:15], v[22:23]
	v_fma_f64 v[32:33], v[40:41], s[12:13], v[32:33]
	s_delay_alu instid0(VALU_DEP_4) | instskip(NEXT) | instid1(VALU_DEP_4)
	v_fma_f64 v[20:21], v[4:5], s[20:21], v[20:21]
	v_fma_f64 v[4:5], v[4:5], s[20:21], v[30:31]
	v_add_f64_e32 v[30:31], v[46:47], v[18:19]
	v_fma_f64 v[22:23], v[6:7], s[20:21], v[22:23]
	v_fma_f64 v[6:7], v[6:7], s[20:21], v[32:33]
	v_add_f64_e32 v[32:33], v[8:9], v[28:29]
	s_delay_alu instid0(VALU_DEP_4)
	v_fma_f64 v[30:31], v[30:31], -0.5, v[24:25]
	v_add_f64_e32 v[24:25], v[24:25], v[46:47]
	ds_load_b128 v[44:47], v220 offset:880
	v_fma_f64 v[32:33], v[32:33], -0.5, v[26:27]
	v_add_f64_e32 v[26:27], v[26:27], v[8:9]
	v_add_f64_e64 v[8:9], v[12:13], -v[8:9]
	v_add_f64_e32 v[10:11], v[24:25], v[10:11]
	s_delay_alu instid0(VALU_DEP_3) | instskip(NEXT) | instid1(VALU_DEP_2)
	v_add_f64_e32 v[24:25], v[26:27], v[12:13]
	v_add_f64_e32 v[10:11], v[10:11], v[14:15]
	v_add_f64_e64 v[14:15], v[14:15], -v[18:19]
	s_delay_alu instid0(VALU_DEP_3) | instskip(NEXT) | instid1(VALU_DEP_3)
	v_add_f64_e32 v[12:13], v[24:25], v[16:17]
	v_add_f64_e32 v[24:25], v[10:11], v[18:19]
	v_add_f64_e64 v[10:11], v[16:17], -v[28:29]
	v_fma_f64 v[16:17], v[36:37], s[16:17], v[30:31]
	v_fma_f64 v[18:19], v[40:41], s[16:17], v[32:33]
	v_add_f64_e32 v[14:15], v[42:43], v[14:15]
	v_add_f64_e32 v[26:27], v[12:13], v[28:29]
	v_fma_f64 v[12:13], v[36:37], s[18:19], v[30:31]
	v_fma_f64 v[28:29], v[40:41], s[18:19], v[32:33]
	v_add_f64_e32 v[8:9], v[8:9], v[10:11]
	s_delay_alu instid0(VALU_DEP_3) | instskip(SKIP_3) | instid1(VALU_DEP_4)
	v_fma_f64 v[10:11], v[34:35], s[12:13], v[12:13]
	v_fma_f64 v[12:13], v[34:35], s[14:15], v[16:17]
	;; [unrolled: 1-line block ×5, first 2 shown]
	v_add_f64_e64 v[10:11], v[60:61], -v[56:57]
	s_delay_alu instid0(VALU_DEP_4) | instskip(NEXT) | instid1(VALU_DEP_4)
	v_fma_f64 v[34:35], v[8:9], s[20:21], v[16:17]
	v_fma_f64 v[30:31], v[8:9], s[20:21], v[18:19]
	v_add_f64_e64 v[8:9], v[54:55], -v[50:51]
	v_fma_f64 v[28:29], v[14:15], s[20:21], v[12:13]
	v_add_f64_e64 v[12:13], v[62:63], -v[58:59]
	v_add_f64_e32 v[14:15], v[52:53], v[58:59]
	v_add_f64_e64 v[16:17], v[48:49], -v[62:63]
	v_add_f64_e64 v[18:19], v[52:53], -v[58:59]
	v_add_f64_e32 v[8:9], v[8:9], v[10:11]
	v_add_f64_e64 v[10:11], v[48:49], -v[52:53]
	s_wait_dscnt 0x0
	v_fma_f64 v[14:15], v[14:15], -0.5, v[46:47]
	s_delay_alu instid0(VALU_DEP_2) | instskip(SKIP_1) | instid1(VALU_DEP_3)
	v_add_f64_e32 v[10:11], v[10:11], v[12:13]
	v_add_f64_e32 v[12:13], v[50:51], v[56:57]
	v_fma_f64 v[38:39], v[80:81], s[18:19], v[14:15]
	v_fma_f64 v[14:15], v[80:81], s[16:17], v[14:15]
	s_delay_alu instid0(VALU_DEP_3) | instskip(NEXT) | instid1(VALU_DEP_3)
	v_fma_f64 v[12:13], v[12:13], -0.5, v[44:45]
	v_fma_f64 v[38:39], v[82:83], s[14:15], v[38:39]
	s_delay_alu instid0(VALU_DEP_3) | instskip(NEXT) | instid1(VALU_DEP_3)
	v_fma_f64 v[14:15], v[82:83], s[12:13], v[14:15]
	v_fma_f64 v[36:37], v[16:17], s[16:17], v[12:13]
	;; [unrolled: 1-line block ×3, first 2 shown]
	s_delay_alu instid0(VALU_DEP_4) | instskip(NEXT) | instid1(VALU_DEP_4)
	v_fma_f64 v[42:43], v[10:11], s[20:21], v[38:39]
	v_fma_f64 v[38:39], v[10:11], s[20:21], v[14:15]
	v_add_f64_e32 v[14:15], v[46:47], v[48:49]
	v_add_f64_e32 v[10:11], v[48:49], v[62:63]
	v_fma_f64 v[36:37], v[18:19], s[12:13], v[36:37]
	v_fma_f64 v[12:13], v[18:19], s[14:15], v[12:13]
	s_delay_alu instid0(VALU_DEP_4) | instskip(NEXT) | instid1(VALU_DEP_4)
	v_add_f64_e32 v[14:15], v[14:15], v[52:53]
	v_fma_f64 v[10:11], v[10:11], -0.5, v[46:47]
	v_add_f64_e64 v[46:47], v[52:53], -v[48:49]
	v_add_f64_e64 v[48:49], v[56:57], -v[60:61]
	v_fma_f64 v[40:41], v[8:9], s[20:21], v[36:37]
	v_fma_f64 v[36:37], v[8:9], s[20:21], v[12:13]
	v_add_f64_e32 v[12:13], v[44:45], v[54:55]
	v_add_f64_e32 v[8:9], v[54:55], v[60:61]
	;; [unrolled: 1-line block ×3, first 2 shown]
	s_delay_alu instid0(VALU_DEP_3) | instskip(NEXT) | instid1(VALU_DEP_3)
	v_add_f64_e32 v[12:13], v[12:13], v[50:51]
	v_fma_f64 v[8:9], v[8:9], -0.5, v[44:45]
	v_add_f64_e64 v[44:45], v[50:51], -v[54:55]
	s_delay_alu instid0(VALU_DEP_4) | instskip(NEXT) | instid1(VALU_DEP_4)
	v_add_f64_e32 v[54:55], v[14:15], v[62:63]
	v_add_f64_e32 v[12:13], v[12:13], v[56:57]
	s_delay_alu instid0(VALU_DEP_4)
	v_fma_f64 v[14:15], v[18:19], s[18:19], v[8:9]
	v_fma_f64 v[8:9], v[18:19], s[16:17], v[8:9]
	;; [unrolled: 1-line block ×4, first 2 shown]
	v_add_f64_e32 v[48:49], v[44:45], v[48:49]
	v_add_f64_e32 v[52:53], v[12:13], v[60:61]
	v_add_f64_e64 v[12:13], v[58:59], -v[62:63]
	v_fma_f64 v[14:15], v[16:17], s[12:13], v[14:15]
	v_fma_f64 v[8:9], v[16:17], s[14:15], v[8:9]
	;; [unrolled: 1-line block ×4, first 2 shown]
	ds_load_b128 v[80:83], v220 offset:1760
	v_add_f64_e64 v[18:19], v[68:69], -v[70:71]
	v_add_f64_e32 v[12:13], v[46:47], v[12:13]
	v_fma_f64 v[44:45], v[48:49], s[20:21], v[14:15]
	v_fma_f64 v[48:49], v[48:49], s[20:21], v[8:9]
	v_add_f64_e64 v[8:9], v[66:67], -v[74:75]
	v_add_f64_e32 v[14:15], v[68:69], v[70:71]
	v_fma_f64 v[50:51], v[12:13], s[20:21], v[10:11]
	v_add_f64_e64 v[10:11], v[76:77], -v[72:73]
	v_fma_f64 v[46:47], v[12:13], s[20:21], v[16:17]
	v_add_f64_e64 v[12:13], v[78:79], -v[70:71]
	s_wait_dscnt 0x0
	v_fma_f64 v[14:15], v[14:15], -0.5, v[82:83]
	v_add_f64_e64 v[16:17], v[64:65], -v[78:79]
	v_add_f64_e32 v[8:9], v[8:9], v[10:11]
	v_add_f64_e64 v[10:11], v[64:65], -v[68:69]
	s_delay_alu instid0(VALU_DEP_4) | instskip(SKIP_1) | instid1(VALU_DEP_3)
	v_fma_f64 v[58:59], v[156:157], s[18:19], v[14:15]
	v_fma_f64 v[14:15], v[156:157], s[16:17], v[14:15]
	v_add_f64_e32 v[10:11], v[10:11], v[12:13]
	v_add_f64_e32 v[12:13], v[74:75], v[72:73]
	s_delay_alu instid0(VALU_DEP_4) | instskip(NEXT) | instid1(VALU_DEP_4)
	v_fma_f64 v[58:59], v[158:159], s[14:15], v[58:59]
	v_fma_f64 v[14:15], v[158:159], s[12:13], v[14:15]
	s_delay_alu instid0(VALU_DEP_3) | instskip(NEXT) | instid1(VALU_DEP_3)
	v_fma_f64 v[12:13], v[12:13], -0.5, v[80:81]
	v_fma_f64 v[58:59], v[10:11], s[20:21], v[58:59]
	s_delay_alu instid0(VALU_DEP_3) | instskip(SKIP_4) | instid1(VALU_DEP_4)
	v_fma_f64 v[62:63], v[10:11], s[20:21], v[14:15]
	v_add_f64_e32 v[14:15], v[82:83], v[64:65]
	v_add_f64_e32 v[10:11], v[64:65], v[78:79]
	v_fma_f64 v[56:57], v[16:17], s[16:17], v[12:13]
	v_fma_f64 v[12:13], v[16:17], s[18:19], v[12:13]
	v_add_f64_e32 v[14:15], v[14:15], v[68:69]
	s_delay_alu instid0(VALU_DEP_4) | instskip(SKIP_4) | instid1(VALU_DEP_3)
	v_fma_f64 v[10:11], v[10:11], -0.5, v[82:83]
	v_add_f64_e64 v[68:69], v[68:69], -v[64:65]
	v_fma_f64 v[56:57], v[18:19], s[12:13], v[56:57]
	v_fma_f64 v[12:13], v[18:19], s[14:15], v[12:13]
	v_add_f64_e32 v[14:15], v[14:15], v[70:71]
	v_fma_f64 v[56:57], v[8:9], s[20:21], v[56:57]
	s_delay_alu instid0(VALU_DEP_3) | instskip(SKIP_2) | instid1(VALU_DEP_2)
	v_fma_f64 v[60:61], v[8:9], s[20:21], v[12:13]
	v_add_f64_e32 v[12:13], v[80:81], v[66:67]
	v_add_f64_e32 v[8:9], v[66:67], v[76:77]
	v_add_f64_e32 v[12:13], v[12:13], v[74:75]
	s_delay_alu instid0(VALU_DEP_2) | instskip(SKIP_2) | instid1(VALU_DEP_4)
	v_fma_f64 v[8:9], v[8:9], -0.5, v[80:81]
	v_add_f64_e64 v[80:81], v[74:75], -v[66:67]
	v_add_f64_e32 v[66:67], v[14:15], v[78:79]
	v_add_f64_e32 v[12:13], v[12:13], v[72:73]
	v_add_f64_e64 v[72:73], v[72:73], -v[76:77]
	v_fma_f64 v[14:15], v[18:19], s[18:19], v[8:9]
	v_fma_f64 v[8:9], v[18:19], s[16:17], v[8:9]
	v_fma_f64 v[18:19], v[158:159], s[16:17], v[10:11]
	v_fma_f64 v[10:11], v[158:159], s[18:19], v[10:11]
	v_add_f64_e32 v[64:65], v[12:13], v[76:77]
	v_add_f64_e64 v[12:13], v[70:71], -v[78:79]
	v_add_f64_e32 v[72:73], v[80:81], v[72:73]
	v_fma_f64 v[14:15], v[16:17], s[12:13], v[14:15]
	v_fma_f64 v[8:9], v[16:17], s[14:15], v[8:9]
	;; [unrolled: 1-line block ×4, first 2 shown]
	ds_load_b128 v[156:159], v220 offset:2640
	v_add_f64_e64 v[18:19], v[88:89], -v[90:91]
	v_add_f64_e32 v[12:13], v[68:69], v[12:13]
	v_fma_f64 v[68:69], v[72:73], s[20:21], v[14:15]
	v_fma_f64 v[72:73], v[72:73], s[20:21], v[8:9]
	v_add_f64_e64 v[8:9], v[86:87], -v[92:93]
	v_add_f64_e32 v[14:15], v[88:89], v[90:91]
	v_fma_f64 v[74:75], v[12:13], s[20:21], v[10:11]
	v_add_f64_e64 v[10:11], v[145:146], -v[94:95]
	v_fma_f64 v[70:71], v[12:13], s[20:21], v[16:17]
	v_add_f64_e64 v[12:13], v[147:148], -v[90:91]
	v_add_f64_e64 v[16:17], v[84:85], -v[147:148]
	s_wait_dscnt 0x0
	v_fma_f64 v[14:15], v[14:15], -0.5, v[158:159]
	v_add_f64_e32 v[8:9], v[8:9], v[10:11]
	v_add_f64_e64 v[10:11], v[84:85], -v[88:89]
	s_delay_alu instid0(VALU_DEP_3) | instskip(SKIP_1) | instid1(VALU_DEP_3)
	v_fma_f64 v[78:79], v[160:161], s[18:19], v[14:15]
	v_fma_f64 v[14:15], v[160:161], s[16:17], v[14:15]
	v_add_f64_e32 v[10:11], v[10:11], v[12:13]
	v_add_f64_e32 v[12:13], v[92:93], v[94:95]
	s_delay_alu instid0(VALU_DEP_4) | instskip(NEXT) | instid1(VALU_DEP_4)
	v_fma_f64 v[78:79], v[162:163], s[14:15], v[78:79]
	v_fma_f64 v[14:15], v[162:163], s[12:13], v[14:15]
	s_delay_alu instid0(VALU_DEP_3) | instskip(NEXT) | instid1(VALU_DEP_3)
	v_fma_f64 v[12:13], v[12:13], -0.5, v[156:157]
	v_fma_f64 v[78:79], v[10:11], s[20:21], v[78:79]
	s_delay_alu instid0(VALU_DEP_3) | instskip(SKIP_4) | instid1(VALU_DEP_4)
	v_fma_f64 v[82:83], v[10:11], s[20:21], v[14:15]
	v_add_f64_e32 v[14:15], v[158:159], v[84:85]
	v_add_f64_e32 v[10:11], v[84:85], v[147:148]
	v_fma_f64 v[76:77], v[16:17], s[16:17], v[12:13]
	v_fma_f64 v[12:13], v[16:17], s[18:19], v[12:13]
	v_add_f64_e32 v[14:15], v[14:15], v[88:89]
	s_delay_alu instid0(VALU_DEP_4) | instskip(SKIP_4) | instid1(VALU_DEP_3)
	v_fma_f64 v[10:11], v[10:11], -0.5, v[158:159]
	v_add_f64_e64 v[88:89], v[88:89], -v[84:85]
	v_fma_f64 v[76:77], v[18:19], s[12:13], v[76:77]
	v_fma_f64 v[12:13], v[18:19], s[14:15], v[12:13]
	v_add_f64_e32 v[14:15], v[14:15], v[90:91]
	v_fma_f64 v[76:77], v[8:9], s[20:21], v[76:77]
	s_delay_alu instid0(VALU_DEP_3) | instskip(SKIP_2) | instid1(VALU_DEP_2)
	v_fma_f64 v[80:81], v[8:9], s[20:21], v[12:13]
	v_add_f64_e32 v[12:13], v[156:157], v[86:87]
	v_add_f64_e32 v[8:9], v[86:87], v[145:146]
	;; [unrolled: 1-line block ×3, first 2 shown]
	s_delay_alu instid0(VALU_DEP_2)
	v_fma_f64 v[8:9], v[8:9], -0.5, v[156:157]
	v_add_f64_e64 v[156:157], v[92:93], -v[86:87]
	v_add_f64_e64 v[92:93], v[94:95], -v[145:146]
	v_add_f64_e32 v[86:87], v[14:15], v[147:148]
	v_add_f64_e32 v[12:13], v[12:13], v[94:95]
	v_fma_f64 v[14:15], v[18:19], s[18:19], v[8:9]
	v_fma_f64 v[8:9], v[18:19], s[16:17], v[8:9]
	v_fma_f64 v[18:19], v[162:163], s[16:17], v[10:11]
	v_fma_f64 v[10:11], v[162:163], s[18:19], v[10:11]
	v_add_f64_e32 v[92:93], v[156:157], v[92:93]
	v_add_f64_e32 v[84:85], v[12:13], v[145:146]
	v_add_f64_e64 v[12:13], v[90:91], -v[147:148]
	v_fma_f64 v[14:15], v[16:17], s[12:13], v[14:15]
	v_fma_f64 v[8:9], v[16:17], s[14:15], v[8:9]
	;; [unrolled: 1-line block ×4, first 2 shown]
	ds_load_b128 v[145:148], v220 offset:3520
	v_add_f64_e64 v[18:19], v[133:134], -v[137:138]
	v_add_f64_e32 v[12:13], v[88:89], v[12:13]
	v_fma_f64 v[88:89], v[92:93], s[20:21], v[14:15]
	v_fma_f64 v[92:93], v[92:93], s[20:21], v[8:9]
	v_add_f64_e64 v[8:9], v[131:132], -v[135:136]
	v_add_f64_e32 v[14:15], v[133:134], v[137:138]
	v_fma_f64 v[94:95], v[12:13], s[20:21], v[10:11]
	v_add_f64_e64 v[10:11], v[141:142], -v[139:140]
	v_fma_f64 v[90:91], v[12:13], s[20:21], v[16:17]
	v_add_f64_e64 v[12:13], v[143:144], -v[137:138]
	s_wait_dscnt 0x0
	v_fma_f64 v[14:15], v[14:15], -0.5, v[147:148]
	v_add_f64_e64 v[16:17], v[129:130], -v[143:144]
	v_add_f64_e32 v[8:9], v[8:9], v[10:11]
	v_add_f64_e64 v[10:11], v[129:130], -v[133:134]
	s_delay_alu instid0(VALU_DEP_4) | instskip(SKIP_1) | instid1(VALU_DEP_3)
	v_fma_f64 v[158:159], v[164:165], s[18:19], v[14:15]
	v_fma_f64 v[14:15], v[164:165], s[16:17], v[14:15]
	v_add_f64_e32 v[10:11], v[10:11], v[12:13]
	v_add_f64_e32 v[12:13], v[135:136], v[139:140]
	s_delay_alu instid0(VALU_DEP_4) | instskip(NEXT) | instid1(VALU_DEP_4)
	v_fma_f64 v[158:159], v[166:167], s[14:15], v[158:159]
	v_fma_f64 v[14:15], v[166:167], s[12:13], v[14:15]
	s_delay_alu instid0(VALU_DEP_3) | instskip(NEXT) | instid1(VALU_DEP_3)
	v_fma_f64 v[12:13], v[12:13], -0.5, v[145:146]
	v_fma_f64 v[158:159], v[10:11], s[20:21], v[158:159]
	s_delay_alu instid0(VALU_DEP_3) | instskip(SKIP_4) | instid1(VALU_DEP_4)
	v_fma_f64 v[162:163], v[10:11], s[20:21], v[14:15]
	v_add_f64_e32 v[14:15], v[147:148], v[129:130]
	v_add_f64_e32 v[10:11], v[129:130], v[143:144]
	v_fma_f64 v[156:157], v[16:17], s[16:17], v[12:13]
	v_fma_f64 v[12:13], v[16:17], s[18:19], v[12:13]
	v_add_f64_e32 v[14:15], v[14:15], v[133:134]
	s_delay_alu instid0(VALU_DEP_4) | instskip(SKIP_4) | instid1(VALU_DEP_3)
	v_fma_f64 v[10:11], v[10:11], -0.5, v[147:148]
	v_add_f64_e64 v[133:134], v[133:134], -v[129:130]
	v_fma_f64 v[156:157], v[18:19], s[12:13], v[156:157]
	v_fma_f64 v[12:13], v[18:19], s[14:15], v[12:13]
	v_add_f64_e32 v[14:15], v[14:15], v[137:138]
	v_fma_f64 v[156:157], v[8:9], s[20:21], v[156:157]
	s_delay_alu instid0(VALU_DEP_3) | instskip(SKIP_2) | instid1(VALU_DEP_2)
	v_fma_f64 v[160:161], v[8:9], s[20:21], v[12:13]
	v_add_f64_e32 v[12:13], v[145:146], v[131:132]
	v_add_f64_e32 v[8:9], v[131:132], v[141:142]
	;; [unrolled: 1-line block ×3, first 2 shown]
	s_delay_alu instid0(VALU_DEP_2)
	v_fma_f64 v[8:9], v[8:9], -0.5, v[145:146]
	v_add_f64_e64 v[145:146], v[135:136], -v[131:132]
	v_add_f64_e64 v[135:136], v[139:140], -v[141:142]
	v_add_f64_e32 v[131:132], v[14:15], v[143:144]
	v_add_f64_e32 v[12:13], v[12:13], v[139:140]
	v_fma_f64 v[14:15], v[18:19], s[18:19], v[8:9]
	v_fma_f64 v[8:9], v[18:19], s[16:17], v[8:9]
	v_fma_f64 v[18:19], v[166:167], s[16:17], v[10:11]
	v_fma_f64 v[10:11], v[166:167], s[18:19], v[10:11]
	v_add_f64_e32 v[129:130], v[12:13], v[141:142]
	v_add_f64_e64 v[12:13], v[137:138], -v[143:144]
	v_add_f64_e32 v[137:138], v[145:146], v[135:136]
	v_fma_f64 v[14:15], v[16:17], s[12:13], v[14:15]
	v_fma_f64 v[8:9], v[16:17], s[14:15], v[8:9]
	;; [unrolled: 1-line block ×4, first 2 shown]
	ds_load_b128 v[141:144], v220 offset:4400
	v_add_f64_e64 v[18:19], v[117:118], -v[119:120]
	v_add_f64_e32 v[12:13], v[133:134], v[12:13]
	v_fma_f64 v[133:134], v[137:138], s[20:21], v[14:15]
	v_fma_f64 v[137:138], v[137:138], s[20:21], v[8:9]
	v_add_f64_e64 v[8:9], v[115:116], -v[121:122]
	v_add_f64_e32 v[14:15], v[117:118], v[119:120]
	v_fma_f64 v[139:140], v[12:13], s[20:21], v[10:11]
	v_add_f64_e64 v[10:11], v[125:126], -v[123:124]
	v_fma_f64 v[135:136], v[12:13], s[20:21], v[16:17]
	v_add_f64_e64 v[12:13], v[127:128], -v[119:120]
	v_add_f64_e64 v[16:17], v[113:114], -v[127:128]
	s_wait_dscnt 0x0
	v_fma_f64 v[14:15], v[14:15], -0.5, v[143:144]
	v_add_f64_e32 v[8:9], v[8:9], v[10:11]
	v_add_f64_e64 v[10:11], v[113:114], -v[117:118]
	s_delay_alu instid0(VALU_DEP_3) | instskip(SKIP_1) | instid1(VALU_DEP_3)
	v_fma_f64 v[147:148], v[168:169], s[18:19], v[14:15]
	v_fma_f64 v[14:15], v[168:169], s[16:17], v[14:15]
	v_add_f64_e32 v[10:11], v[10:11], v[12:13]
	v_add_f64_e32 v[12:13], v[121:122], v[123:124]
	s_delay_alu instid0(VALU_DEP_4) | instskip(NEXT) | instid1(VALU_DEP_4)
	v_fma_f64 v[147:148], v[170:171], s[14:15], v[147:148]
	v_fma_f64 v[14:15], v[170:171], s[12:13], v[14:15]
	s_delay_alu instid0(VALU_DEP_3) | instskip(NEXT) | instid1(VALU_DEP_3)
	v_fma_f64 v[12:13], v[12:13], -0.5, v[141:142]
	v_fma_f64 v[147:148], v[10:11], s[20:21], v[147:148]
	s_delay_alu instid0(VALU_DEP_3) | instskip(SKIP_4) | instid1(VALU_DEP_4)
	v_fma_f64 v[166:167], v[10:11], s[20:21], v[14:15]
	v_add_f64_e32 v[14:15], v[143:144], v[113:114]
	v_add_f64_e32 v[10:11], v[113:114], v[127:128]
	v_fma_f64 v[145:146], v[16:17], s[16:17], v[12:13]
	v_fma_f64 v[12:13], v[16:17], s[18:19], v[12:13]
	v_add_f64_e32 v[14:15], v[14:15], v[117:118]
	s_delay_alu instid0(VALU_DEP_4) | instskip(SKIP_4) | instid1(VALU_DEP_3)
	v_fma_f64 v[10:11], v[10:11], -0.5, v[143:144]
	v_add_f64_e64 v[117:118], v[117:118], -v[113:114]
	v_fma_f64 v[145:146], v[18:19], s[12:13], v[145:146]
	v_fma_f64 v[12:13], v[18:19], s[14:15], v[12:13]
	v_add_f64_e32 v[14:15], v[14:15], v[119:120]
	v_fma_f64 v[145:146], v[8:9], s[20:21], v[145:146]
	s_delay_alu instid0(VALU_DEP_3) | instskip(SKIP_2) | instid1(VALU_DEP_2)
	v_fma_f64 v[164:165], v[8:9], s[20:21], v[12:13]
	v_add_f64_e32 v[12:13], v[141:142], v[115:116]
	v_add_f64_e32 v[8:9], v[115:116], v[125:126]
	;; [unrolled: 1-line block ×3, first 2 shown]
	s_delay_alu instid0(VALU_DEP_2)
	v_fma_f64 v[8:9], v[8:9], -0.5, v[141:142]
	v_add_f64_e64 v[141:142], v[121:122], -v[115:116]
	v_add_f64_e64 v[121:122], v[123:124], -v[125:126]
	v_add_f64_e32 v[115:116], v[14:15], v[127:128]
	v_add_f64_e32 v[12:13], v[12:13], v[123:124]
	v_fma_f64 v[14:15], v[18:19], s[18:19], v[8:9]
	v_fma_f64 v[8:9], v[18:19], s[16:17], v[8:9]
	;; [unrolled: 1-line block ×4, first 2 shown]
	v_add_f64_e32 v[121:122], v[141:142], v[121:122]
	v_add_f64_e32 v[141:142], v[99:100], v[103:104]
	;; [unrolled: 1-line block ×3, first 2 shown]
	v_add_f64_e64 v[12:13], v[119:120], -v[127:128]
	v_fma_f64 v[14:15], v[16:17], s[12:13], v[14:15]
	v_fma_f64 v[8:9], v[16:17], s[14:15], v[8:9]
	v_fma_f64 v[10:11], v[168:169], s[12:13], v[10:11]
	v_fma_f64 v[16:17], v[168:169], s[14:15], v[18:19]
	ds_load_b128 v[125:128], v220 offset:5280
	v_add_f64_e64 v[18:19], v[99:100], -v[103:104]
	global_wb scope:SCOPE_SE
	s_wait_storecnt_dscnt 0x0
	s_barrier_signal -1
	s_barrier_wait -1
	global_inv scope:SCOPE_SE
	ds_store_b128 v220, v[24:27]
	ds_store_b128 v220, v[20:23] offset:1232
	ds_store_b128 v220, v[32:35] offset:2464
	;; [unrolled: 1-line block ×4, first 2 shown]
	s_wait_alu 0xf1ff
	v_cndmask_b32_e64 v4, 0, 0x181, s0
	s_add_nc_u64 s[0:1], s[8:9], 0x7850
	s_mov_b32 s8, 0x36b3c0b5
	s_mov_b32 s9, 0x3fac98ee
	s_delay_alu instid0(VALU_DEP_1)
	v_add_lshl_u32 v4, v96, v4, 4
	ds_store_b128 v4, v[52:55]
	ds_store_b128 v4, v[40:43] offset:1232
	ds_store_b128 v4, v[44:47] offset:2464
	;; [unrolled: 1-line block ×3, first 2 shown]
	scratch_store_b32 off, v4, off offset:1432 ; 4-byte Folded Spill
	ds_store_b128 v4, v[36:39] offset:4928
	v_fma_f64 v[168:169], v[141:142], -0.5, v[127:128]
	ds_store_b128 v3, v[64:67]
	ds_store_b128 v3, v[56:59] offset:1232
	ds_store_b128 v3, v[68:71] offset:2464
	;; [unrolled: 1-line block ×3, first 2 shown]
	scratch_store_b32 off, v3, off offset:1340 ; 4-byte Folded Spill
	ds_store_b128 v3, v[60:63] offset:4928
	v_lshlrev_b32_e32 v3, 4, v151
	ds_store_b128 v3, v[84:87] offset:12320
	ds_store_b128 v3, v[76:79] offset:13552
	;; [unrolled: 1-line block ×4, first 2 shown]
	scratch_store_b32 off, v3, off offset:1288 ; 4-byte Folded Spill
	ds_store_b128 v3, v[80:83] offset:17248
	v_mad_u16 v3, 0x181, v150, v152
	v_add_f64_e32 v[12:13], v[117:118], v[12:13]
	v_fma_f64 v[117:118], v[121:122], s[20:21], v[14:15]
	v_fma_f64 v[121:122], v[121:122], s[20:21], v[8:9]
	v_add_f64_e64 v[8:9], v[101:102], -v[105:106]
	v_add_f64_e64 v[14:15], v[97:98], -v[109:110]
	v_and_b32_e32 v3, 0xffff, v3
	s_delay_alu instid0(VALU_DEP_1)
	v_lshlrev_b32_e32 v3, 4, v3
	ds_store_b128 v3, v[129:132]
	ds_store_b128 v3, v[156:159] offset:1232
	ds_store_b128 v3, v[133:136] offset:2464
	ds_store_b128 v3, v[137:140] offset:3696
	scratch_store_b32 off, v3, off offset:1260 ; 4-byte Folded Spill
	ds_store_b128 v3, v[160:163] offset:4928
	v_mad_u16 v3, 0x181, v153, v154
	s_delay_alu instid0(VALU_DEP_1) | instskip(SKIP_1) | instid1(VALU_DEP_2)
	v_and_b32_e32 v3, 0xffff, v3
	v_fma_f64 v[141:142], v[172:173], s[18:19], v[168:169]
	v_lshlrev_b32_e32 v3, 4, v3
	v_fma_f64 v[123:124], v[12:13], s[20:21], v[10:11]
	v_add_f64_e64 v[10:11], v[111:112], -v[107:108]
	v_fma_f64 v[119:120], v[12:13], s[20:21], v[16:17]
	v_add_f64_e64 v[12:13], v[109:110], -v[103:104]
	ds_store_b128 v3, v[113:116]
	ds_store_b128 v3, v[145:148] offset:1232
	ds_store_b128 v3, v[117:120] offset:2464
	;; [unrolled: 1-line block ×3, first 2 shown]
	v_add_f64_e32 v[8:9], v[8:9], v[10:11]
	v_add_f64_e64 v[10:11], v[97:98], -v[99:100]
	v_fma_f64 v[143:144], v[174:175], s[14:15], v[141:142]
	scratch_store_b32 off, v3, off offset:1252 ; 4-byte Folded Spill
	ds_store_b128 v3, v[164:167] offset:4928
	v_and_b32_e32 v3, 0xffff, v155
	s_delay_alu instid0(VALU_DEP_1) | instskip(SKIP_2) | instid1(VALU_DEP_2)
	v_lshlrev_b32_e32 v3, 4, v3
	v_add_f64_e32 v[10:11], v[10:11], v[12:13]
	v_add_f64_e32 v[12:13], v[105:106], v[107:108]
	v_fma_f64 v[143:144], v[10:11], s[20:21], v[143:144]
	s_delay_alu instid0(VALU_DEP_2) | instskip(NEXT) | instid1(VALU_DEP_1)
	v_fma_f64 v[12:13], v[12:13], -0.5, v[125:126]
	v_fma_f64 v[16:17], v[14:15], s[16:17], v[12:13]
	v_fma_f64 v[12:13], v[14:15], s[18:19], v[12:13]
	s_delay_alu instid0(VALU_DEP_2) | instskip(NEXT) | instid1(VALU_DEP_2)
	v_fma_f64 v[16:17], v[18:19], s[12:13], v[16:17]
	v_fma_f64 v[12:13], v[18:19], s[14:15], v[12:13]
	s_delay_alu instid0(VALU_DEP_2) | instskip(SKIP_1) | instid1(VALU_DEP_3)
	v_fma_f64 v[141:142], v[8:9], s[20:21], v[16:17]
	v_fma_f64 v[16:17], v[172:173], s[16:17], v[168:169]
	;; [unrolled: 1-line block ×3, first 2 shown]
	v_add_f64_e32 v[12:13], v[125:126], v[101:102]
	v_add_f64_e32 v[8:9], v[101:102], v[111:112]
	v_add_f64_e64 v[101:102], v[105:106], -v[101:102]
	v_fma_f64 v[16:17], v[174:175], s[12:13], v[16:17]
	s_delay_alu instid0(VALU_DEP_4) | instskip(NEXT) | instid1(VALU_DEP_4)
	v_add_f64_e32 v[12:13], v[12:13], v[105:106]
	v_fma_f64 v[8:9], v[8:9], -0.5, v[125:126]
	s_delay_alu instid0(VALU_DEP_3)
	v_fma_f64 v[170:171], v[10:11], s[20:21], v[16:17]
	v_add_f64_e32 v[16:17], v[127:128], v[97:98]
	v_add_f64_e32 v[10:11], v[97:98], v[109:110]
	;; [unrolled: 1-line block ×3, first 2 shown]
	v_fma_f64 v[125:126], v[18:19], s[18:19], v[8:9]
	v_fma_f64 v[8:9], v[18:19], s[16:17], v[8:9]
	v_add_f64_e64 v[18:19], v[107:108], -v[111:112]
	v_add_f64_e32 v[16:17], v[16:17], v[99:100]
	v_fma_f64 v[10:11], v[10:11], -0.5, v[127:128]
	v_add_f64_e32 v[105:106], v[12:13], v[111:112]
	v_add_f64_e64 v[12:13], v[99:100], -v[97:98]
	v_fma_f64 v[99:100], v[14:15], s[12:13], v[125:126]
	v_add_f64_e32 v[18:19], v[101:102], v[18:19]
	v_fma_f64 v[8:9], v[14:15], s[14:15], v[8:9]
	v_add_f64_e32 v[16:17], v[16:17], v[103:104]
	v_fma_f64 v[97:98], v[174:175], s[16:17], v[10:11]
	v_fma_f64 v[10:11], v[174:175], s[18:19], v[10:11]
	s_delay_alu instid0(VALU_DEP_4) | instskip(NEXT) | instid1(VALU_DEP_4)
	v_fma_f64 v[101:102], v[18:19], s[20:21], v[8:9]
	v_add_f64_e32 v[107:108], v[16:17], v[109:110]
	v_add_f64_e64 v[16:17], v[103:104], -v[109:110]
	v_fma_f64 v[14:15], v[172:173], s[14:15], v[97:98]
	v_fma_f64 v[10:11], v[172:173], s[12:13], v[10:11]
	;; [unrolled: 1-line block ×3, first 2 shown]
	s_delay_alu instid0(VALU_DEP_4) | instskip(NEXT) | instid1(VALU_DEP_1)
	v_add_f64_e32 v[12:13], v[12:13], v[16:17]
	v_fma_f64 v[99:100], v[12:13], s[20:21], v[14:15]
	s_delay_alu instid0(VALU_DEP_4)
	v_fma_f64 v[103:104], v[12:13], s[20:21], v[10:11]
	ds_store_b128 v3, v[105:108] offset:24640
	ds_store_b128 v3, v[141:144] offset:25872
	;; [unrolled: 1-line block ×4, first 2 shown]
	scratch_store_b32 off, v3, off offset:1048 ; 4-byte Folded Spill
	ds_store_b128 v3, v[168:171] offset:29568
	global_wb scope:SCOPE_SE
	s_wait_storecnt_dscnt 0x0
	s_barrier_signal -1
	s_barrier_wait -1
	global_inv scope:SCOPE_SE
	s_clause 0x3
	global_load_b128 v[10:13], v0, s[10:11] offset:6048
	global_load_b128 v[14:17], v0, s[10:11] offset:6064
	;; [unrolled: 1-line block ×4, first 2 shown]
	ds_load_b128 v[3:6], v220 offset:6160
	ds_load_b128 v[28:31], v220 offset:22880
	v_lshlrev_b32_e32 v0, 6, v176
	ds_load_b128 v[32:35], v220 offset:29040
	s_wait_loadcnt_dscnt 0x302
	v_mul_f64_e32 v[7:8], v[5:6], v[12:13]
	scratch_store_b128 off, v[10:13], off offset:1184 ; 16-byte Folded Spill
	s_wait_loadcnt 0x2
	scratch_store_b128 off, v[14:17], off offset:1384 ; 16-byte Folded Spill
	s_wait_loadcnt 0x1
	;; [unrolled: 2-line block ×3, first 2 shown]
	scratch_store_b128 off, v[22:25], off offset:1416 ; 16-byte Folded Spill
	v_fma_f64 v[8:9], v[3:4], v[10:11], -v[7:8]
	v_mul_f64_e32 v[3:4], v[3:4], v[12:13]
	s_delay_alu instid0(VALU_DEP_1) | instskip(SKIP_3) | instid1(VALU_DEP_1)
	v_fma_f64 v[10:11], v[5:6], v[10:11], v[3:4]
	ds_load_b128 v[3:6], v220 offset:12320
	s_wait_dscnt 0x0
	v_mul_f64_e32 v[12:13], v[5:6], v[16:17]
	v_fma_f64 v[12:13], v[3:4], v[14:15], -v[12:13]
	v_mul_f64_e32 v[3:4], v[3:4], v[16:17]
	s_delay_alu instid0(VALU_DEP_1) | instskip(SKIP_3) | instid1(VALU_DEP_1)
	v_fma_f64 v[14:15], v[5:6], v[14:15], v[3:4]
	ds_load_b128 v[3:6], v220 offset:18480
	s_wait_dscnt 0x0
	v_mul_f64_e32 v[16:17], v[5:6], v[20:21]
	v_fma_f64 v[16:17], v[3:4], v[18:19], -v[16:17]
	v_mul_f64_e32 v[3:4], v[3:4], v[20:21]
	s_delay_alu instid0(VALU_DEP_2) | instskip(NEXT) | instid1(VALU_DEP_2)
	v_add_f64_e64 v[74:75], v[12:13], -v[16:17]
	v_fma_f64 v[18:19], v[5:6], v[18:19], v[3:4]
	ds_load_b128 v[3:6], v220 offset:24640
	s_wait_dscnt 0x0
	v_mul_f64_e32 v[20:21], v[5:6], v[24:25]
	v_add_f64_e64 v[70:71], v[14:15], -v[18:19]
	s_delay_alu instid0(VALU_DEP_2) | instskip(SKIP_1) | instid1(VALU_DEP_2)
	v_fma_f64 v[52:53], v[3:4], v[22:23], -v[20:21]
	v_mul_f64_e32 v[3:4], v[3:4], v[24:25]
	v_add_f64_e64 v[72:73], v[8:9], -v[52:53]
	s_delay_alu instid0(VALU_DEP_2)
	v_fma_f64 v[54:55], v[5:6], v[22:23], v[3:4]
	global_load_b128 v[22:25], v0, s[10:11] offset:6048
	ds_load_b128 v[3:6], v220 offset:7040
	v_add_f64_e64 v[68:69], v[10:11], -v[54:55]
	s_wait_loadcnt_dscnt 0x0
	v_mul_f64_e32 v[20:21], v[5:6], v[24:25]
	scratch_store_b128 off, v[22:25], off offset:1436 ; 16-byte Folded Spill
	v_fma_f64 v[76:77], v[3:4], v[22:23], -v[20:21]
	v_mul_f64_e32 v[3:4], v[3:4], v[24:25]
	s_delay_alu instid0(VALU_DEP_1)
	v_fma_f64 v[78:79], v[5:6], v[22:23], v[3:4]
	global_load_b128 v[22:25], v0, s[10:11] offset:6064
	ds_load_b128 v[3:6], v220 offset:13200
	s_wait_loadcnt_dscnt 0x0
	v_mul_f64_e32 v[20:21], v[5:6], v[24:25]
	scratch_store_b128 off, v[22:25], off offset:1484 ; 16-byte Folded Spill
	v_fma_f64 v[80:81], v[3:4], v[22:23], -v[20:21]
	v_mul_f64_e32 v[3:4], v[3:4], v[24:25]
	s_delay_alu instid0(VALU_DEP_1)
	v_fma_f64 v[82:83], v[5:6], v[22:23], v[3:4]
	global_load_b128 v[22:25], v0, s[10:11] offset:6080
	ds_load_b128 v[3:6], v220 offset:19360
	s_wait_loadcnt_dscnt 0x0
	v_mul_f64_e32 v[20:21], v[5:6], v[24:25]
	scratch_store_b128 off, v[22:25], off offset:1516 ; 16-byte Folded Spill
	v_fma_f64 v[84:85], v[3:4], v[22:23], -v[20:21]
	v_mul_f64_e32 v[3:4], v[3:4], v[24:25]
	s_delay_alu instid0(VALU_DEP_2) | instskip(NEXT) | instid1(VALU_DEP_2)
	v_add_f64_e64 v[94:95], v[80:81], -v[84:85]
	v_fma_f64 v[86:87], v[5:6], v[22:23], v[3:4]
	global_load_b128 v[22:25], v0, s[10:11] offset:6096
	ds_load_b128 v[3:6], v220 offset:25520
	v_lshlrev_b32_e32 v0, 6, v179
	s_wait_loadcnt_dscnt 0x0
	v_mul_f64_e32 v[20:21], v[5:6], v[24:25]
	scratch_store_b128 off, v[22:25], off offset:1532 ; 16-byte Folded Spill
	v_fma_f64 v[88:89], v[3:4], v[22:23], -v[20:21]
	v_mul_f64_e32 v[3:4], v[3:4], v[24:25]
	s_delay_alu instid0(VALU_DEP_2) | instskip(NEXT) | instid1(VALU_DEP_2)
	v_add_f64_e64 v[92:93], v[76:77], -v[88:89]
	v_fma_f64 v[90:91], v[5:6], v[22:23], v[3:4]
	global_load_b128 v[22:25], v0, s[10:11] offset:6048
	ds_load_b128 v[3:6], v220 offset:7920
	s_wait_loadcnt_dscnt 0x0
	v_mul_f64_e32 v[20:21], v[5:6], v[24:25]
	scratch_store_b128 off, v[22:25], off offset:1548 ; 16-byte Folded Spill
	v_fma_f64 v[98:99], v[3:4], v[22:23], -v[20:21]
	v_mul_f64_e32 v[3:4], v[3:4], v[24:25]
	s_delay_alu instid0(VALU_DEP_1)
	v_fma_f64 v[96:97], v[5:6], v[22:23], v[3:4]
	global_load_b128 v[22:25], v0, s[10:11] offset:6064
	ds_load_b128 v[3:6], v220 offset:14080
	s_wait_loadcnt_dscnt 0x0
	v_mul_f64_e32 v[20:21], v[5:6], v[24:25]
	scratch_store_b128 off, v[22:25], off offset:1564 ; 16-byte Folded Spill
	v_fma_f64 v[104:105], v[3:4], v[22:23], -v[20:21]
	v_mul_f64_e32 v[3:4], v[3:4], v[24:25]
	s_delay_alu instid0(VALU_DEP_1)
	;; [unrolled: 9-line block ×3, first 2 shown]
	v_fma_f64 v[102:103], v[5:6], v[22:23], v[3:4]
	global_load_b128 v[22:25], v0, s[10:11] offset:6096
	ds_load_b128 v[3:6], v220 offset:26400
	v_lshlrev_b32_e32 v0, 6, v178
	v_add_f64_e64 v[178:179], v[104:105], -v[106:107]
	s_wait_loadcnt_dscnt 0x0
	v_mul_f64_e32 v[20:21], v[5:6], v[24:25]
	scratch_store_b128 off, v[22:25], off offset:1596 ; 16-byte Folded Spill
	v_fma_f64 v[108:109], v[3:4], v[22:23], -v[20:21]
	v_mul_f64_e32 v[3:4], v[3:4], v[24:25]
	s_delay_alu instid0(VALU_DEP_1)
	v_fma_f64 v[110:111], v[5:6], v[22:23], v[3:4]
	global_load_b128 v[22:25], v0, s[10:11] offset:6048
	ds_load_b128 v[3:6], v220 offset:8800
	s_wait_loadcnt_dscnt 0x0
	v_mul_f64_e32 v[20:21], v[5:6], v[24:25]
	scratch_store_b128 off, v[22:25], off offset:1612 ; 16-byte Folded Spill
	v_fma_f64 v[162:163], v[3:4], v[22:23], -v[20:21]
	v_mul_f64_e32 v[3:4], v[3:4], v[24:25]
	s_delay_alu instid0(VALU_DEP_1)
	v_fma_f64 v[160:161], v[5:6], v[22:23], v[3:4]
	global_load_b128 v[22:25], v0, s[10:11] offset:6064
	ds_load_b128 v[3:6], v220 offset:14960
	;; [unrolled: 9-line block ×4, first 2 shown]
	v_lshlrev_b32_e32 v0, 6, v177
	v_add_f64_e64 v[176:177], v[98:99], -v[108:109]
	s_wait_loadcnt_dscnt 0x0
	v_mul_f64_e32 v[20:21], v[5:6], v[24:25]
	scratch_store_b128 off, v[22:25], off offset:1708 ; 16-byte Folded Spill
	v_fma_f64 v[172:173], v[3:4], v[22:23], -v[20:21]
	v_mul_f64_e32 v[3:4], v[3:4], v[24:25]
	s_delay_alu instid0(VALU_DEP_1)
	v_fma_f64 v[174:175], v[5:6], v[22:23], v[3:4]
	global_load_b128 v[22:25], v0, s[10:11] offset:6048
	ds_load_b128 v[3:6], v220 offset:9680
	s_wait_loadcnt_dscnt 0x0
	v_mul_f64_e32 v[20:21], v[5:6], v[24:25]
	scratch_store_b128 off, v[22:25], off offset:1740 ; 16-byte Folded Spill
	v_fma_f64 v[146:147], v[3:4], v[22:23], -v[20:21]
	v_mul_f64_e32 v[3:4], v[3:4], v[24:25]
	s_delay_alu instid0(VALU_DEP_1)
	v_fma_f64 v[144:145], v[5:6], v[22:23], v[3:4]
	global_load_b128 v[22:25], v0, s[10:11] offset:6064
	ds_load_b128 v[3:6], v220 offset:15840
	s_wait_loadcnt_dscnt 0x0
	v_mul_f64_e32 v[20:21], v[5:6], v[24:25]
	scratch_store_b128 off, v[22:25], off offset:1868 ; 16-byte Folded Spill
	v_fma_f64 v[154:155], v[3:4], v[22:23], -v[20:21]
	v_mul_f64_e32 v[3:4], v[3:4], v[24:25]
	s_delay_alu instid0(VALU_DEP_1)
	v_fma_f64 v[148:149], v[5:6], v[22:23], v[3:4]
	global_load_b128 v[22:25], v0, s[10:11] offset:6080
	ds_load_b128 v[3:6], v220 offset:22000
	s_wait_loadcnt_dscnt 0x0
	v_mul_f64_e32 v[20:21], v[5:6], v[24:25]
	scratch_store_b128 off, v[22:25], off offset:1900 ; 16-byte Folded Spill
	v_fma_f64 v[152:153], v[3:4], v[22:23], -v[20:21]
	v_mul_f64_e32 v[3:4], v[3:4], v[24:25]
	s_delay_alu instid0(VALU_DEP_1)
	v_fma_f64 v[150:151], v[5:6], v[22:23], v[3:4]
	global_load_b128 v[22:25], v0, s[10:11] offset:6096
	ds_load_b128 v[3:6], v220 offset:28160
	v_lshlrev_b32_e32 v0, 6, v2
	s_wait_loadcnt_dscnt 0x0
	v_mul_f64_e32 v[20:21], v[5:6], v[24:25]
	s_delay_alu instid0(VALU_DEP_1) | instskip(SKIP_1) | instid1(VALU_DEP_1)
	v_fma_f64 v[156:157], v[3:4], v[22:23], -v[20:21]
	v_mul_f64_e32 v[3:4], v[3:4], v[24:25]
	v_fma_f64 v[158:159], v[5:6], v[22:23], v[3:4]
	global_load_b128 v[4:7], v0, s[10:11] offset:6048
	scratch_store_b128 off, v[22:25], off offset:1884 ; 16-byte Folded Spill
	ds_load_b128 v[20:23], v220 offset:10560
	s_wait_loadcnt 0x0
	scratch_store_b128 off, v[4:7], off offset:1980 ; 16-byte Folded Spill
	s_wait_dscnt 0x0
	v_mul_f64_e32 v[2:3], v[22:23], v[6:7]
	s_delay_alu instid0(VALU_DEP_1) | instskip(SKIP_1) | instid1(VALU_DEP_1)
	v_fma_f64 v[132:133], v[20:21], v[4:5], -v[2:3]
	v_mul_f64_e32 v[2:3], v[20:21], v[6:7]
	v_fma_f64 v[128:129], v[22:23], v[4:5], v[2:3]
	global_load_b128 v[4:7], v0, s[10:11] offset:6064
	ds_load_b128 v[20:23], v220 offset:16720
	s_wait_loadcnt_dscnt 0x0
	v_mul_f64_e32 v[2:3], v[22:23], v[6:7]
	scratch_store_b128 off, v[4:7], off offset:2060 ; 16-byte Folded Spill
	v_fma_f64 v[136:137], v[20:21], v[4:5], -v[2:3]
	v_mul_f64_e32 v[2:3], v[20:21], v[6:7]
	s_delay_alu instid0(VALU_DEP_1)
	v_fma_f64 v[130:131], v[22:23], v[4:5], v[2:3]
	global_load_b128 v[4:7], v0, s[10:11] offset:6080
	s_wait_loadcnt 0x0
	v_mul_f64_e32 v[2:3], v[30:31], v[6:7]
	scratch_store_b128 off, v[4:7], off offset:2044 ; 16-byte Folded Spill
	v_fma_f64 v[138:139], v[28:29], v[4:5], -v[2:3]
	v_mul_f64_e32 v[2:3], v[28:29], v[6:7]
	s_delay_alu instid0(VALU_DEP_1)
	v_fma_f64 v[134:135], v[30:31], v[4:5], v[2:3]
	global_load_b128 v[4:7], v0, s[10:11] offset:6096
	s_wait_loadcnt 0x0
	v_mul_f64_e32 v[2:3], v[34:35], v[6:7]
	scratch_store_b128 off, v[4:7], off offset:2076 ; 16-byte Folded Spill
	v_fma_f64 v[142:143], v[32:33], v[4:5], -v[2:3]
	v_mul_f64_e32 v[2:3], v[32:33], v[6:7]
	s_delay_alu instid0(VALU_DEP_1)
	v_fma_f64 v[140:141], v[34:35], v[4:5], v[2:3]
	v_lshlrev_b32_e32 v4, 6, v1
	ds_load_b128 v[0:3], v220 offset:11440
	global_load_b128 v[20:23], v4, s[10:11] offset:6048
	s_wait_loadcnt_dscnt 0x0
	v_mul_f64_e32 v[36:37], v[2:3], v[22:23]
	scratch_store_b128 off, v[20:23], off offset:2092 ; 16-byte Folded Spill
	v_fma_f64 v[116:117], v[0:1], v[20:21], -v[36:37]
	global_load_b128 v[36:39], v4, s[10:11] offset:6064
	v_mul_f64_e32 v[0:1], v[0:1], v[22:23]
	s_delay_alu instid0(VALU_DEP_1) | instskip(SKIP_3) | instid1(VALU_DEP_1)
	v_fma_f64 v[112:113], v[2:3], v[20:21], v[0:1]
	ds_load_b128 v[0:3], v220 offset:17600
	s_wait_loadcnt_dscnt 0x0
	v_mul_f64_e32 v[40:41], v[2:3], v[38:39]
	v_fma_f64 v[120:121], v[0:1], v[36:37], -v[40:41]
	global_load_b128 v[40:43], v4, s[10:11] offset:6080
	v_mul_f64_e32 v[0:1], v[0:1], v[38:39]
	s_delay_alu instid0(VALU_DEP_1) | instskip(SKIP_3) | instid1(VALU_DEP_1)
	v_fma_f64 v[114:115], v[2:3], v[36:37], v[0:1]
	ds_load_b128 v[0:3], v220 offset:23760
	s_wait_loadcnt_dscnt 0x0
	v_mul_f64_e32 v[44:45], v[2:3], v[42:43]
	v_fma_f64 v[122:123], v[0:1], v[40:41], -v[44:45]
	global_load_b128 v[44:47], v4, s[10:11] offset:6096
	v_mul_f64_e32 v[0:1], v[0:1], v[42:43]
	s_mov_b32 s10, 0x429ad128
	s_mov_b32 s11, 0xbfebfeb5
	s_delay_alu instid0(VALU_DEP_1) | instskip(SKIP_3) | instid1(VALU_DEP_1)
	v_fma_f64 v[118:119], v[2:3], v[40:41], v[0:1]
	ds_load_b128 v[0:3], v220 offset:29920
	s_wait_loadcnt_dscnt 0x0
	v_mul_f64_e32 v[48:49], v[2:3], v[46:47]
	v_fma_f64 v[126:127], v[0:1], v[44:45], -v[48:49]
	v_mul_f64_e32 v[0:1], v[0:1], v[46:47]
	v_add_f64_e32 v[48:49], v[12:13], v[16:17]
	s_delay_alu instid0(VALU_DEP_3) | instskip(NEXT) | instid1(VALU_DEP_3)
	v_add_f64_e64 v[196:197], v[116:117], -v[126:127]
	v_fma_f64 v[124:125], v[2:3], v[44:45], v[0:1]
	v_add_f64_e64 v[0:1], v[8:9], -v[12:13]
	v_add_f64_e64 v[2:3], v[52:53], -v[16:17]
	s_delay_alu instid0(VALU_DEP_1) | instskip(SKIP_2) | instid1(VALU_DEP_1)
	v_add_f64_e32 v[56:57], v[0:1], v[2:3]
	v_add_f64_e64 v[0:1], v[10:11], -v[14:15]
	v_add_f64_e64 v[2:3], v[54:55], -v[18:19]
	v_add_f64_e32 v[58:59], v[0:1], v[2:3]
	ds_load_b128 v[0:3], v220
	s_wait_dscnt 0x0
	v_fma_f64 v[60:61], v[48:49], -0.5, v[0:1]
	v_add_f64_e32 v[48:49], v[14:15], v[18:19]
	s_delay_alu instid0(VALU_DEP_1) | instskip(NEXT) | instid1(VALU_DEP_3)
	v_fma_f64 v[62:63], v[48:49], -0.5, v[2:3]
	v_fma_f64 v[48:49], v[68:69], s[16:17], v[60:61]
	v_fma_f64 v[60:61], v[68:69], s[18:19], v[60:61]
	s_delay_alu instid0(VALU_DEP_3) | instskip(SKIP_1) | instid1(VALU_DEP_4)
	v_fma_f64 v[50:51], v[72:73], s[18:19], v[62:63]
	v_fma_f64 v[62:63], v[72:73], s[16:17], v[62:63]
	;; [unrolled: 1-line block ×3, first 2 shown]
	s_delay_alu instid0(VALU_DEP_4) | instskip(NEXT) | instid1(VALU_DEP_4)
	v_fma_f64 v[60:61], v[70:71], s[14:15], v[60:61]
	v_fma_f64 v[50:51], v[74:75], s[14:15], v[50:51]
	s_delay_alu instid0(VALU_DEP_4) | instskip(NEXT) | instid1(VALU_DEP_4)
	v_fma_f64 v[62:63], v[74:75], s[12:13], v[62:63]
	v_fma_f64 v[48:49], v[56:57], s[20:21], v[48:49]
	s_delay_alu instid0(VALU_DEP_4) | instskip(SKIP_4) | instid1(VALU_DEP_4)
	v_fma_f64 v[56:57], v[56:57], s[20:21], v[60:61]
	v_add_f64_e32 v[60:61], v[8:9], v[52:53]
	v_fma_f64 v[50:51], v[58:59], s[20:21], v[50:51]
	v_fma_f64 v[58:59], v[58:59], s[20:21], v[62:63]
	v_add_f64_e32 v[62:63], v[10:11], v[54:55]
	v_fma_f64 v[60:61], v[60:61], -0.5, v[0:1]
	v_add_f64_e32 v[0:1], v[0:1], v[8:9]
	v_add_f64_e64 v[8:9], v[12:13], -v[8:9]
	s_delay_alu instid0(VALU_DEP_4) | instskip(SKIP_4) | instid1(VALU_DEP_4)
	v_fma_f64 v[62:63], v[62:63], -0.5, v[2:3]
	v_add_f64_e32 v[2:3], v[2:3], v[10:11]
	v_add_f64_e64 v[10:11], v[14:15], -v[10:11]
	v_add_f64_e32 v[0:1], v[0:1], v[12:13]
	v_add_f64_e64 v[12:13], v[16:17], -v[52:53]
	v_add_f64_e32 v[2:3], v[2:3], v[14:15]
	v_fma_f64 v[14:15], v[70:71], s[16:17], v[60:61]
	s_delay_alu instid0(VALU_DEP_4) | instskip(SKIP_3) | instid1(VALU_DEP_4)
	v_add_f64_e32 v[0:1], v[0:1], v[16:17]
	v_fma_f64 v[16:17], v[74:75], s[16:17], v[62:63]
	v_add_f64_e32 v[8:9], v[8:9], v[12:13]
	v_add_f64_e32 v[2:3], v[2:3], v[18:19]
	;; [unrolled: 1-line block ×3, first 2 shown]
	v_add_f64_e64 v[0:1], v[18:19], -v[54:55]
	v_fma_f64 v[18:19], v[74:75], s[18:19], v[62:63]
	v_fma_f64 v[12:13], v[72:73], s[14:15], v[16:17]
	v_add_f64_e64 v[16:17], v[78:79], -v[90:91]
	v_add_f64_e32 v[66:67], v[2:3], v[54:55]
	v_fma_f64 v[2:3], v[70:71], s[18:19], v[60:61]
	v_add_f64_e32 v[0:1], v[10:11], v[0:1]
	v_fma_f64 v[10:11], v[68:69], s[14:15], v[14:15]
	v_fma_f64 v[14:15], v[72:73], s[12:13], v[18:19]
	v_add_f64_e64 v[18:19], v[82:83], -v[86:87]
	v_fma_f64 v[2:3], v[68:69], s[12:13], v[2:3]
	v_fma_f64 v[62:63], v[0:1], s[20:21], v[12:13]
	;; [unrolled: 1-line block ×4, first 2 shown]
	v_add_f64_e64 v[0:1], v[76:77], -v[80:81]
	v_add_f64_e32 v[12:13], v[80:81], v[84:85]
	v_add_f64_e32 v[14:15], v[82:83], v[86:87]
	v_fma_f64 v[60:61], v[8:9], s[20:21], v[2:3]
	v_add_f64_e64 v[2:3], v[88:89], -v[84:85]
	s_delay_alu instid0(VALU_DEP_1) | instskip(SKIP_2) | instid1(VALU_DEP_1)
	v_add_f64_e32 v[8:9], v[0:1], v[2:3]
	v_add_f64_e64 v[0:1], v[78:79], -v[82:83]
	v_add_f64_e64 v[2:3], v[90:91], -v[86:87]
	v_add_f64_e32 v[10:11], v[0:1], v[2:3]
	ds_load_b128 v[0:3], v220 offset:880
	s_wait_dscnt 0x0
	v_fma_f64 v[12:13], v[12:13], -0.5, v[0:1]
	v_fma_f64 v[14:15], v[14:15], -0.5, v[2:3]
	s_delay_alu instid0(VALU_DEP_2) | instskip(NEXT) | instid1(VALU_DEP_2)
	v_fma_f64 v[68:69], v[16:17], s[16:17], v[12:13]
	v_fma_f64 v[70:71], v[92:93], s[18:19], v[14:15]
	;; [unrolled: 1-line block ×4, first 2 shown]
	s_delay_alu instid0(VALU_DEP_4) | instskip(NEXT) | instid1(VALU_DEP_4)
	v_fma_f64 v[68:69], v[18:19], s[12:13], v[68:69]
	v_fma_f64 v[70:71], v[94:95], s[14:15], v[70:71]
	s_delay_alu instid0(VALU_DEP_4) | instskip(NEXT) | instid1(VALU_DEP_4)
	v_fma_f64 v[12:13], v[18:19], s[14:15], v[12:13]
	v_fma_f64 v[14:15], v[94:95], s[12:13], v[14:15]
	;; [unrolled: 3-line block ×4, first 2 shown]
	v_add_f64_e32 v[8:9], v[76:77], v[88:89]
	v_add_f64_e32 v[10:11], v[78:79], v[90:91]
	v_add_f64_e64 v[12:13], v[80:81], -v[76:77]
	v_add_f64_e64 v[14:15], v[82:83], -v[78:79]
	s_delay_alu instid0(VALU_DEP_4) | instskip(NEXT) | instid1(VALU_DEP_4)
	v_fma_f64 v[8:9], v[8:9], -0.5, v[0:1]
	v_fma_f64 v[10:11], v[10:11], -0.5, v[2:3]
	v_add_f64_e32 v[0:1], v[0:1], v[76:77]
	v_add_f64_e32 v[2:3], v[2:3], v[78:79]
	v_add_f64_e64 v[76:77], v[84:85], -v[88:89]
	s_delay_alu instid0(VALU_DEP_3) | instskip(NEXT) | instid1(VALU_DEP_3)
	v_add_f64_e32 v[0:1], v[0:1], v[80:81]
	v_add_f64_e32 v[2:3], v[2:3], v[82:83]
	s_delay_alu instid0(VALU_DEP_3) | instskip(NEXT) | instid1(VALU_DEP_3)
	v_add_f64_e32 v[12:13], v[12:13], v[76:77]
	v_add_f64_e32 v[0:1], v[0:1], v[84:85]
	s_delay_alu instid0(VALU_DEP_3) | instskip(NEXT) | instid1(VALU_DEP_2)
	v_add_f64_e32 v[2:3], v[2:3], v[86:87]
	v_add_f64_e32 v[80:81], v[0:1], v[88:89]
	s_delay_alu instid0(VALU_DEP_2)
	v_add_f64_e32 v[82:83], v[2:3], v[90:91]
	v_add_f64_e64 v[0:1], v[86:87], -v[90:91]
	v_fma_f64 v[2:3], v[18:19], s[18:19], v[8:9]
	v_fma_f64 v[8:9], v[18:19], s[16:17], v[8:9]
	;; [unrolled: 1-line block ×4, first 2 shown]
	v_add_f64_e32 v[0:1], v[14:15], v[0:1]
	v_fma_f64 v[2:3], v[16:17], s[12:13], v[2:3]
	v_fma_f64 v[8:9], v[16:17], s[14:15], v[8:9]
	;; [unrolled: 1-line block ×4, first 2 shown]
	v_add_f64_e64 v[16:17], v[96:97], -v[110:111]
	v_add_f64_e64 v[18:19], v[100:101], -v[102:103]
	v_fma_f64 v[84:85], v[12:13], s[20:21], v[2:3]
	v_add_f64_e64 v[2:3], v[108:109], -v[106:107]
	v_fma_f64 v[86:87], v[0:1], s[20:21], v[14:15]
	v_fma_f64 v[78:79], v[0:1], s[20:21], v[10:11]
	v_add_f64_e64 v[0:1], v[98:99], -v[104:105]
	v_fma_f64 v[76:77], v[12:13], s[20:21], v[8:9]
	v_add_f64_e32 v[12:13], v[104:105], v[106:107]
	v_add_f64_e32 v[14:15], v[100:101], v[102:103]
	s_delay_alu instid0(VALU_DEP_4) | instskip(SKIP_2) | instid1(VALU_DEP_1)
	v_add_f64_e32 v[8:9], v[0:1], v[2:3]
	v_add_f64_e64 v[0:1], v[96:97], -v[100:101]
	v_add_f64_e64 v[2:3], v[110:111], -v[102:103]
	v_add_f64_e32 v[10:11], v[0:1], v[2:3]
	ds_load_b128 v[0:3], v220 offset:1760
	s_wait_dscnt 0x0
	v_fma_f64 v[12:13], v[12:13], -0.5, v[0:1]
	v_fma_f64 v[14:15], v[14:15], -0.5, v[2:3]
	s_delay_alu instid0(VALU_DEP_2) | instskip(NEXT) | instid1(VALU_DEP_2)
	v_fma_f64 v[88:89], v[16:17], s[16:17], v[12:13]
	v_fma_f64 v[90:91], v[176:177], s[18:19], v[14:15]
	v_fma_f64 v[12:13], v[16:17], s[18:19], v[12:13]
	v_fma_f64 v[14:15], v[176:177], s[16:17], v[14:15]
	s_delay_alu instid0(VALU_DEP_4) | instskip(NEXT) | instid1(VALU_DEP_4)
	v_fma_f64 v[88:89], v[18:19], s[12:13], v[88:89]
	v_fma_f64 v[90:91], v[178:179], s[14:15], v[90:91]
	s_delay_alu instid0(VALU_DEP_4) | instskip(NEXT) | instid1(VALU_DEP_4)
	v_fma_f64 v[12:13], v[18:19], s[14:15], v[12:13]
	v_fma_f64 v[14:15], v[178:179], s[12:13], v[14:15]
	;; [unrolled: 3-line block ×4, first 2 shown]
	v_add_f64_e32 v[8:9], v[98:99], v[108:109]
	v_add_f64_e32 v[10:11], v[96:97], v[110:111]
	v_add_f64_e64 v[12:13], v[104:105], -v[98:99]
	v_add_f64_e64 v[14:15], v[100:101], -v[96:97]
	s_delay_alu instid0(VALU_DEP_4) | instskip(NEXT) | instid1(VALU_DEP_4)
	v_fma_f64 v[8:9], v[8:9], -0.5, v[0:1]
	v_fma_f64 v[10:11], v[10:11], -0.5, v[2:3]
	v_add_f64_e32 v[0:1], v[0:1], v[98:99]
	v_add_f64_e32 v[2:3], v[2:3], v[96:97]
	s_delay_alu instid0(VALU_DEP_2) | instskip(NEXT) | instid1(VALU_DEP_2)
	v_add_f64_e32 v[0:1], v[0:1], v[104:105]
	v_add_f64_e32 v[2:3], v[2:3], v[100:101]
	v_add_f64_e64 v[100:101], v[106:107], -v[108:109]
	s_delay_alu instid0(VALU_DEP_3) | instskip(NEXT) | instid1(VALU_DEP_3)
	v_add_f64_e32 v[0:1], v[0:1], v[106:107]
	v_add_f64_e32 v[2:3], v[2:3], v[102:103]
	s_delay_alu instid0(VALU_DEP_3) | instskip(NEXT) | instid1(VALU_DEP_3)
	v_add_f64_e32 v[12:13], v[12:13], v[100:101]
	v_add_f64_e32 v[96:97], v[0:1], v[108:109]
	s_delay_alu instid0(VALU_DEP_3)
	v_add_f64_e32 v[98:99], v[2:3], v[110:111]
	v_add_f64_e64 v[0:1], v[102:103], -v[110:111]
	v_fma_f64 v[2:3], v[18:19], s[18:19], v[8:9]
	v_fma_f64 v[8:9], v[18:19], s[16:17], v[8:9]
	;; [unrolled: 1-line block ×4, first 2 shown]
	v_add_f64_e64 v[178:179], v[168:169], -v[170:171]
	v_add_f64_e32 v[0:1], v[14:15], v[0:1]
	v_fma_f64 v[2:3], v[16:17], s[12:13], v[2:3]
	v_fma_f64 v[8:9], v[16:17], s[14:15], v[8:9]
	;; [unrolled: 1-line block ×4, first 2 shown]
	v_add_f64_e64 v[16:17], v[160:161], -v[174:175]
	v_add_f64_e64 v[176:177], v[162:163], -v[172:173]
	;; [unrolled: 1-line block ×3, first 2 shown]
	v_fma_f64 v[100:101], v[12:13], s[20:21], v[2:3]
	v_add_f64_e64 v[2:3], v[172:173], -v[170:171]
	v_fma_f64 v[102:103], v[0:1], s[20:21], v[14:15]
	v_fma_f64 v[106:107], v[0:1], s[20:21], v[10:11]
	v_add_f64_e64 v[0:1], v[162:163], -v[168:169]
	v_fma_f64 v[104:105], v[12:13], s[20:21], v[8:9]
	v_add_f64_e32 v[12:13], v[168:169], v[170:171]
	v_add_f64_e32 v[14:15], v[164:165], v[166:167]
	s_delay_alu instid0(VALU_DEP_4) | instskip(SKIP_2) | instid1(VALU_DEP_1)
	v_add_f64_e32 v[8:9], v[0:1], v[2:3]
	v_add_f64_e64 v[0:1], v[160:161], -v[164:165]
	v_add_f64_e64 v[2:3], v[174:175], -v[166:167]
	v_add_f64_e32 v[10:11], v[0:1], v[2:3]
	ds_load_b128 v[0:3], v220 offset:2640
	s_wait_dscnt 0x0
	v_fma_f64 v[12:13], v[12:13], -0.5, v[0:1]
	v_fma_f64 v[14:15], v[14:15], -0.5, v[2:3]
	s_delay_alu instid0(VALU_DEP_2) | instskip(NEXT) | instid1(VALU_DEP_2)
	v_fma_f64 v[108:109], v[16:17], s[16:17], v[12:13]
	v_fma_f64 v[110:111], v[176:177], s[18:19], v[14:15]
	v_fma_f64 v[12:13], v[16:17], s[18:19], v[12:13]
	v_fma_f64 v[14:15], v[176:177], s[16:17], v[14:15]
	s_delay_alu instid0(VALU_DEP_4) | instskip(NEXT) | instid1(VALU_DEP_4)
	v_fma_f64 v[108:109], v[18:19], s[12:13], v[108:109]
	v_fma_f64 v[110:111], v[178:179], s[14:15], v[110:111]
	s_delay_alu instid0(VALU_DEP_4) | instskip(NEXT) | instid1(VALU_DEP_4)
	v_fma_f64 v[12:13], v[18:19], s[14:15], v[12:13]
	v_fma_f64 v[14:15], v[178:179], s[12:13], v[14:15]
	;; [unrolled: 3-line block ×4, first 2 shown]
	v_add_f64_e32 v[8:9], v[162:163], v[172:173]
	v_add_f64_e32 v[10:11], v[160:161], v[174:175]
	v_add_f64_e64 v[12:13], v[168:169], -v[162:163]
	v_add_f64_e64 v[14:15], v[164:165], -v[160:161]
	s_delay_alu instid0(VALU_DEP_4) | instskip(NEXT) | instid1(VALU_DEP_4)
	v_fma_f64 v[8:9], v[8:9], -0.5, v[0:1]
	v_fma_f64 v[10:11], v[10:11], -0.5, v[2:3]
	v_add_f64_e32 v[2:3], v[2:3], v[160:161]
	v_add_f64_e32 v[0:1], v[0:1], v[162:163]
	v_add_f64_e64 v[160:161], v[170:171], -v[172:173]
	v_add_f64_e64 v[162:163], v[166:167], -v[174:175]
	s_delay_alu instid0(VALU_DEP_4)
	v_add_f64_e32 v[2:3], v[2:3], v[164:165]
	v_fma_f64 v[164:165], v[18:19], s[18:19], v[8:9]
	v_fma_f64 v[8:9], v[18:19], s[16:17], v[8:9]
	;; [unrolled: 1-line block ×4, first 2 shown]
	v_add_f64_e32 v[12:13], v[12:13], v[160:161]
	v_add_f64_e32 v[14:15], v[14:15], v[162:163]
	;; [unrolled: 1-line block ×3, first 2 shown]
	v_add_f64_e64 v[178:179], v[154:155], -v[152:153]
	v_add_f64_e32 v[2:3], v[2:3], v[166:167]
	v_fma_f64 v[160:161], v[16:17], s[12:13], v[164:165]
	v_fma_f64 v[8:9], v[16:17], s[14:15], v[8:9]
	;; [unrolled: 1-line block ×4, first 2 shown]
	v_add_f64_e64 v[176:177], v[146:147], -v[156:157]
	v_add_f64_e64 v[18:19], v[148:149], -v[150:151]
	v_add_f64_e32 v[0:1], v[0:1], v[170:171]
	ds_load_b128 v[168:171], v220 offset:3520
	v_add_f64_e32 v[2:3], v[2:3], v[174:175]
	v_fma_f64 v[160:161], v[12:13], s[20:21], v[160:161]
	v_fma_f64 v[164:165], v[12:13], s[20:21], v[8:9]
	v_add_f64_e64 v[8:9], v[146:147], -v[154:155]
	v_fma_f64 v[166:167], v[14:15], s[20:21], v[10:11]
	v_add_f64_e64 v[10:11], v[156:157], -v[152:153]
	v_add_f64_e64 v[12:13], v[158:159], -v[150:151]
	v_fma_f64 v[162:163], v[14:15], s[20:21], v[16:17]
	v_add_f64_e32 v[14:15], v[148:149], v[150:151]
	v_add_f64_e64 v[16:17], v[144:145], -v[158:159]
	v_add_f64_e32 v[0:1], v[0:1], v[172:173]
	v_add_f64_e32 v[8:9], v[8:9], v[10:11]
	v_add_f64_e64 v[10:11], v[144:145], -v[148:149]
	s_wait_dscnt 0x0
	v_fma_f64 v[14:15], v[14:15], -0.5, v[170:171]
	s_delay_alu instid0(VALU_DEP_2) | instskip(SKIP_1) | instid1(VALU_DEP_3)
	v_add_f64_e32 v[10:11], v[10:11], v[12:13]
	v_add_f64_e32 v[12:13], v[154:155], v[152:153]
	v_fma_f64 v[174:175], v[176:177], s[18:19], v[14:15]
	v_fma_f64 v[14:15], v[176:177], s[16:17], v[14:15]
	s_delay_alu instid0(VALU_DEP_3) | instskip(NEXT) | instid1(VALU_DEP_3)
	v_fma_f64 v[12:13], v[12:13], -0.5, v[168:169]
	v_fma_f64 v[174:175], v[178:179], s[14:15], v[174:175]
	s_delay_alu instid0(VALU_DEP_3) | instskip(NEXT) | instid1(VALU_DEP_3)
	v_fma_f64 v[14:15], v[178:179], s[12:13], v[14:15]
	v_fma_f64 v[172:173], v[16:17], s[16:17], v[12:13]
	v_fma_f64 v[12:13], v[16:17], s[18:19], v[12:13]
	s_delay_alu instid0(VALU_DEP_3)
	v_fma_f64 v[186:187], v[10:11], s[20:21], v[14:15]
	v_add_f64_e32 v[14:15], v[170:171], v[144:145]
	v_fma_f64 v[174:175], v[10:11], s[20:21], v[174:175]
	v_add_f64_e32 v[10:11], v[144:145], v[158:159]
	v_fma_f64 v[172:173], v[18:19], s[12:13], v[172:173]
	v_fma_f64 v[12:13], v[18:19], s[14:15], v[12:13]
	v_add_f64_e32 v[14:15], v[14:15], v[148:149]
	v_add_f64_e64 v[148:149], v[148:149], -v[144:145]
	v_fma_f64 v[10:11], v[10:11], -0.5, v[170:171]
	v_fma_f64 v[172:173], v[8:9], s[20:21], v[172:173]
	v_fma_f64 v[184:185], v[8:9], s[20:21], v[12:13]
	v_add_f64_e32 v[12:13], v[168:169], v[146:147]
	v_add_f64_e32 v[8:9], v[146:147], v[156:157]
	;; [unrolled: 1-line block ×3, first 2 shown]
	s_delay_alu instid0(VALU_DEP_3) | instskip(NEXT) | instid1(VALU_DEP_3)
	v_add_f64_e32 v[12:13], v[12:13], v[154:155]
	v_fma_f64 v[8:9], v[8:9], -0.5, v[168:169]
	v_add_f64_e64 v[168:169], v[154:155], -v[146:147]
	s_delay_alu instid0(VALU_DEP_4) | instskip(NEXT) | instid1(VALU_DEP_4)
	v_add_f64_e32 v[146:147], v[14:15], v[158:159]
	v_add_f64_e32 v[12:13], v[12:13], v[152:153]
	v_add_f64_e64 v[152:153], v[152:153], -v[156:157]
	v_fma_f64 v[14:15], v[18:19], s[18:19], v[8:9]
	v_fma_f64 v[8:9], v[18:19], s[16:17], v[8:9]
	;; [unrolled: 1-line block ×4, first 2 shown]
	v_add_f64_e64 v[178:179], v[136:137], -v[138:139]
	v_add_f64_e32 v[144:145], v[12:13], v[156:157]
	v_add_f64_e64 v[12:13], v[150:151], -v[158:159]
	v_add_f64_e32 v[152:153], v[168:169], v[152:153]
	v_fma_f64 v[14:15], v[16:17], s[12:13], v[14:15]
	v_fma_f64 v[8:9], v[16:17], s[14:15], v[8:9]
	;; [unrolled: 1-line block ×4, first 2 shown]
	ds_load_b128 v[156:159], v220 offset:4400
	v_add_f64_e64 v[176:177], v[132:133], -v[142:143]
	v_add_f64_e64 v[18:19], v[130:131], -v[134:135]
	v_add_f64_e32 v[12:13], v[148:149], v[12:13]
	v_fma_f64 v[148:149], v[152:153], s[20:21], v[14:15]
	v_fma_f64 v[152:153], v[152:153], s[20:21], v[8:9]
	v_add_f64_e64 v[8:9], v[132:133], -v[136:137]
	v_add_f64_e32 v[14:15], v[130:131], v[134:135]
	v_fma_f64 v[154:155], v[12:13], s[20:21], v[10:11]
	v_add_f64_e64 v[10:11], v[142:143], -v[138:139]
	v_fma_f64 v[150:151], v[12:13], s[20:21], v[16:17]
	v_add_f64_e64 v[12:13], v[140:141], -v[134:135]
	v_add_f64_e64 v[16:17], v[128:129], -v[140:141]
	s_wait_dscnt 0x0
	v_fma_f64 v[14:15], v[14:15], -0.5, v[158:159]
	v_add_f64_e32 v[8:9], v[8:9], v[10:11]
	v_add_f64_e64 v[10:11], v[128:129], -v[130:131]
	s_delay_alu instid0(VALU_DEP_3) | instskip(SKIP_1) | instid1(VALU_DEP_3)
	v_fma_f64 v[170:171], v[176:177], s[18:19], v[14:15]
	v_fma_f64 v[14:15], v[176:177], s[16:17], v[14:15]
	v_add_f64_e32 v[10:11], v[10:11], v[12:13]
	v_add_f64_e32 v[12:13], v[136:137], v[138:139]
	s_delay_alu instid0(VALU_DEP_4) | instskip(NEXT) | instid1(VALU_DEP_4)
	v_fma_f64 v[170:171], v[178:179], s[14:15], v[170:171]
	v_fma_f64 v[14:15], v[178:179], s[12:13], v[14:15]
	s_delay_alu instid0(VALU_DEP_3) | instskip(NEXT) | instid1(VALU_DEP_3)
	v_fma_f64 v[12:13], v[12:13], -0.5, v[156:157]
	v_fma_f64 v[170:171], v[10:11], s[20:21], v[170:171]
	s_delay_alu instid0(VALU_DEP_3) | instskip(SKIP_4) | instid1(VALU_DEP_4)
	v_fma_f64 v[190:191], v[10:11], s[20:21], v[14:15]
	v_add_f64_e32 v[14:15], v[158:159], v[128:129]
	v_add_f64_e32 v[10:11], v[128:129], v[140:141]
	v_fma_f64 v[168:169], v[16:17], s[16:17], v[12:13]
	v_fma_f64 v[12:13], v[16:17], s[18:19], v[12:13]
	v_add_f64_e32 v[14:15], v[14:15], v[130:131]
	s_delay_alu instid0(VALU_DEP_4) | instskip(NEXT) | instid1(VALU_DEP_4)
	v_fma_f64 v[10:11], v[10:11], -0.5, v[158:159]
	v_fma_f64 v[168:169], v[18:19], s[12:13], v[168:169]
	s_delay_alu instid0(VALU_DEP_4) | instskip(NEXT) | instid1(VALU_DEP_4)
	v_fma_f64 v[12:13], v[18:19], s[14:15], v[12:13]
	v_add_f64_e32 v[14:15], v[14:15], v[134:135]
	s_delay_alu instid0(VALU_DEP_3) | instskip(NEXT) | instid1(VALU_DEP_3)
	v_fma_f64 v[168:169], v[8:9], s[20:21], v[168:169]
	v_fma_f64 v[188:189], v[8:9], s[20:21], v[12:13]
	v_add_f64_e32 v[12:13], v[156:157], v[132:133]
	v_add_f64_e32 v[8:9], v[132:133], v[142:143]
	v_add_f64_e64 v[132:133], v[136:137], -v[132:133]
	s_delay_alu instid0(VALU_DEP_3) | instskip(NEXT) | instid1(VALU_DEP_3)
	v_add_f64_e32 v[12:13], v[12:13], v[136:137]
	v_fma_f64 v[8:9], v[8:9], -0.5, v[156:157]
	s_delay_alu instid0(VALU_DEP_2) | instskip(NEXT) | instid1(VALU_DEP_2)
	v_add_f64_e32 v[12:13], v[12:13], v[138:139]
	v_fma_f64 v[156:157], v[18:19], s[18:19], v[8:9]
	v_fma_f64 v[8:9], v[18:19], s[16:17], v[8:9]
	v_add_f64_e64 v[18:19], v[138:139], -v[142:143]
	v_add_f64_e32 v[138:139], v[14:15], v[140:141]
	v_add_f64_e64 v[14:15], v[134:135], -v[140:141]
	v_add_f64_e32 v[136:137], v[12:13], v[142:143]
	v_add_f64_e64 v[12:13], v[130:131], -v[128:129]
	v_fma_f64 v[128:129], v[178:179], s[16:17], v[10:11]
	v_fma_f64 v[10:11], v[178:179], s[18:19], v[10:11]
	v_add_f64_e32 v[18:19], v[132:133], v[18:19]
	v_fma_f64 v[8:9], v[16:17], s[14:15], v[8:9]
	v_fma_f64 v[130:131], v[16:17], s[12:13], v[156:157]
	ds_load_b128 v[140:143], v220 offset:5280
	v_add_f64_e32 v[156:157], v[112:113], v[124:125]
	v_add_f64_e64 v[16:17], v[112:113], -v[124:125]
	v_add_f64_e64 v[178:179], v[120:121], -v[122:123]
	v_add_f64_e32 v[12:13], v[12:13], v[14:15]
	v_fma_f64 v[14:15], v[176:177], s[14:15], v[128:129]
	v_fma_f64 v[10:11], v[176:177], s[12:13], v[10:11]
	;; [unrolled: 1-line block ×3, first 2 shown]
	v_add_f64_e64 v[8:9], v[120:121], -v[116:117]
	v_fma_f64 v[128:129], v[18:19], s[20:21], v[130:131]
	s_wait_dscnt 0x0
	v_fma_f64 v[176:177], v[156:157], -0.5, v[142:143]
	v_fma_f64 v[130:131], v[12:13], s[20:21], v[14:15]
	v_fma_f64 v[134:135], v[12:13], s[20:21], v[10:11]
	v_add_f64_e64 v[10:11], v[122:123], -v[126:127]
	v_add_f64_e64 v[12:13], v[118:119], -v[124:125]
	;; [unrolled: 1-line block ×3, first 2 shown]
	v_fma_f64 v[156:157], v[178:179], s[16:17], v[176:177]
	s_delay_alu instid0(VALU_DEP_4) | instskip(SKIP_1) | instid1(VALU_DEP_3)
	v_add_f64_e32 v[8:9], v[8:9], v[10:11]
	v_add_f64_e64 v[10:11], v[114:115], -v[112:113]
	v_fma_f64 v[158:159], v[196:197], s[14:15], v[156:157]
	s_delay_alu instid0(VALU_DEP_2) | instskip(SKIP_1) | instid1(VALU_DEP_2)
	v_add_f64_e32 v[10:11], v[10:11], v[12:13]
	v_add_f64_e32 v[12:13], v[116:117], v[126:127]
	v_fma_f64 v[158:159], v[10:11], s[20:21], v[158:159]
	s_delay_alu instid0(VALU_DEP_2) | instskip(NEXT) | instid1(VALU_DEP_1)
	v_fma_f64 v[12:13], v[12:13], -0.5, v[140:141]
	v_fma_f64 v[18:19], v[14:15], s[18:19], v[12:13]
	v_fma_f64 v[12:13], v[14:15], s[16:17], v[12:13]
	s_delay_alu instid0(VALU_DEP_2) | instskip(NEXT) | instid1(VALU_DEP_2)
	v_fma_f64 v[18:19], v[16:17], s[12:13], v[18:19]
	v_fma_f64 v[12:13], v[16:17], s[14:15], v[12:13]
	s_delay_alu instid0(VALU_DEP_2) | instskip(SKIP_1) | instid1(VALU_DEP_3)
	v_fma_f64 v[156:157], v[8:9], s[20:21], v[18:19]
	v_fma_f64 v[18:19], v[178:179], s[18:19], v[176:177]
	;; [unrolled: 1-line block ×3, first 2 shown]
	v_add_f64_e32 v[8:9], v[120:121], v[122:123]
	v_add_f64_e32 v[12:13], v[140:141], v[116:117]
	v_add_f64_e64 v[116:117], v[116:117], -v[120:121]
	v_fma_f64 v[18:19], v[196:197], s[12:13], v[18:19]
	s_delay_alu instid0(VALU_DEP_4) | instskip(NEXT) | instid1(VALU_DEP_4)
	v_fma_f64 v[8:9], v[8:9], -0.5, v[140:141]
	v_add_f64_e32 v[12:13], v[12:13], v[120:121]
	s_delay_alu instid0(VALU_DEP_3)
	v_fma_f64 v[194:195], v[10:11], s[20:21], v[18:19]
	v_add_f64_e32 v[18:19], v[142:143], v[112:113]
	v_add_f64_e32 v[10:11], v[114:115], v[118:119]
	v_fma_f64 v[140:141], v[16:17], s[16:17], v[8:9]
	v_fma_f64 v[8:9], v[16:17], s[18:19], v[8:9]
	v_add_f64_e32 v[12:13], v[12:13], v[122:123]
	v_add_f64_e32 v[16:17], v[18:19], v[114:115]
	v_fma_f64 v[10:11], v[10:11], -0.5, v[142:143]
	v_add_f64_e64 v[18:19], v[126:127], -v[122:123]
	v_fma_f64 v[8:9], v[14:15], s[14:15], v[8:9]
	v_add_f64_e32 v[120:121], v[12:13], v[126:127]
	v_add_f64_e64 v[12:13], v[112:113], -v[114:115]
	v_fma_f64 v[114:115], v[14:15], s[12:13], v[140:141]
	v_add_f64_e32 v[16:17], v[16:17], v[118:119]
	v_fma_f64 v[112:113], v[196:197], s[18:19], v[10:11]
	v_fma_f64 v[10:11], v[196:197], s[16:17], v[10:11]
	v_add_f64_e32 v[18:19], v[116:117], v[18:19]
	s_mov_b32 s18, 0xaaaaaaaa
	s_mov_b32 s16, 0xb247c609
	;; [unrolled: 1-line block ×4, first 2 shown]
	s_wait_alu 0xfffe
	s_mov_b32 s24, s16
	s_delay_alu instid0(VALU_DEP_4)
	v_add_f64_e32 v[122:123], v[16:17], v[124:125]
	v_add_f64_e64 v[16:17], v[124:125], -v[118:119]
	v_fma_f64 v[14:15], v[178:179], s[14:15], v[112:113]
	v_fma_f64 v[10:11], v[178:179], s[12:13], v[10:11]
	;; [unrolled: 1-line block ×4, first 2 shown]
	s_mov_b32 s12, 0xe976ee23
	s_mov_b32 s13, 0x3fe11646
	;; [unrolled: 1-line block ×4, first 2 shown]
	s_wait_alu 0xfffe
	s_mov_b32 s22, s14
	v_add_f64_e32 v[12:13], v[12:13], v[16:17]
	s_delay_alu instid0(VALU_DEP_1)
	v_fma_f64 v[114:115], v[12:13], s[20:21], v[14:15]
	v_fma_f64 v[118:119], v[12:13], s[20:21], v[10:11]
	ds_store_b128 v220, v[64:67]
	ds_store_b128 v220, v[80:83] offset:880
	ds_store_b128 v220, v[60:63] offset:12320
	ds_store_b128 v220, v[84:87] offset:13200
	ds_store_b128 v220, v[56:59] offset:24640
	ds_store_b128 v220, v[72:75] offset:25520
	ds_store_b128 v220, v[68:71] offset:7040
	ds_store_b128 v220, v[92:95] offset:7920
	ds_store_b128 v220, v[76:79] offset:19360
	ds_store_b128 v220, v[104:107] offset:20240
	ds_store_b128 v220, v[96:99] offset:1760
	ds_store_b128 v220, v[0:3] offset:2640
	ds_store_b128 v220, v[100:103] offset:14080
	ds_store_b128 v220, v[160:163] offset:14960
	ds_store_b128 v220, v[88:91] offset:26400
	ds_store_b128 v220, v[180:183] offset:27280
	ds_store_b128 v220, v[108:111] offset:8800
	ds_store_b128 v220, v[172:175] offset:9680
	ds_store_b128 v220, v[164:167] offset:21120
	ds_store_b128 v220, v[152:155] offset:22000
	ds_store_b128 v220, v[144:147] offset:3520
	ds_store_b128 v220, v[136:139] offset:4400
	ds_store_b128 v220, v[148:151] offset:15840
	ds_store_b128 v220, v[128:131] offset:16720
	ds_store_b128 v220, v[184:187] offset:28160
	ds_store_b128 v220, v[188:191] offset:29040
	ds_store_b128 v220, v[48:51] offset:6160
	ds_store_b128 v220, v[120:123] offset:5280
	ds_store_b128 v220, v[168:171] offset:10560
	ds_store_b128 v220, v[112:115] offset:11440
	ds_store_b128 v220, v[52:55] offset:18480
	ds_store_b128 v220, v[156:159] offset:17600
	ds_store_b128 v220, v[132:135] offset:22880
	ds_store_b128 v220, v[192:195] offset:23760
	ds_store_b128 v220, v[116:119] offset:29920
	global_wb scope:SCOPE_SE
	s_wait_storecnt_dscnt 0x0
	s_barrier_signal -1
	s_barrier_wait -1
	global_inv scope:SCOPE_SE
	scratch_load_b64 v[0:1], off, off offset:2108 th:TH_LOAD_LU ; 8-byte Folded Reload
	ds_load_b128 v[48:51], v220
	ds_load_b128 v[92:95], v220 offset:880
	ds_load_b128 v[56:59], v220 offset:4400
	;; [unrolled: 1-line block ×28, first 2 shown]
	s_mov_b32 s20, 0x37e14327
	s_mov_b32 s21, 0x3fe948f6
	ds_load_b128 v[214:217], v220 offset:7920
	ds_load_b128 v[234:237], v220 offset:16720
	s_wait_loadcnt 0x0
	global_load_b128 v[0:3], v[0:1], off offset:30800
	s_wait_loadcnt_dscnt 0x1e
	v_mul_f64_e32 v[8:9], v[50:51], v[2:3]
	v_mul_f64_e32 v[2:3], v[48:49], v[2:3]
	s_delay_alu instid0(VALU_DEP_2) | instskip(NEXT) | instid1(VALU_DEP_2)
	v_fma_f64 v[48:49], v[48:49], v[0:1], -v[8:9]
	v_fma_f64 v[50:51], v[50:51], v[0:1], v[2:3]
	v_lshlrev_b32_e32 v0, 4, v198
	ds_load_b128 v[196:199], v220 offset:15840
	s_clause 0x1
	global_load_b128 v[52:55], v0, s[0:1] offset:4400
	global_load_b128 v[224:227], v0, s[0:1] offset:29040
	s_wait_loadcnt_dscnt 0x11d
	v_mul_f64_e32 v[1:2], v[58:59], v[54:55]
	v_mul_f64_e32 v[8:9], v[56:57], v[54:55]
	s_delay_alu instid0(VALU_DEP_2) | instskip(NEXT) | instid1(VALU_DEP_2)
	v_fma_f64 v[54:55], v[56:57], v[52:53], -v[1:2]
	v_fma_f64 v[56:57], v[58:59], v[52:53], v[8:9]
	global_load_b128 v[58:61], v0, s[0:1] offset:8800
	s_wait_loadcnt_dscnt 0x1b
	v_mul_f64_e32 v[1:2], v[64:65], v[60:61]
	v_mul_f64_e32 v[8:9], v[62:63], v[60:61]
	s_delay_alu instid0(VALU_DEP_2) | instskip(NEXT) | instid1(VALU_DEP_2)
	v_fma_f64 v[60:61], v[62:63], v[58:59], -v[1:2]
	v_fma_f64 v[62:63], v[64:65], v[58:59], v[8:9]
	;; [unrolled: 7-line block ×6, first 2 shown]
	global_load_b128 v[88:91], v0, s[0:1] offset:880
	s_wait_loadcnt 0x0
	v_mul_f64_e32 v[1:2], v[94:95], v[90:91]
	v_mul_f64_e32 v[8:9], v[92:93], v[90:91]
	s_delay_alu instid0(VALU_DEP_2) | instskip(NEXT) | instid1(VALU_DEP_2)
	v_fma_f64 v[90:91], v[92:93], v[88:89], -v[1:2]
	v_fma_f64 v[92:93], v[94:95], v[88:89], v[8:9]
	global_load_b128 v[94:97], v0, s[0:1] offset:5280
	s_wait_loadcnt 0x0
	v_mul_f64_e32 v[1:2], v[100:101], v[96:97]
	v_mul_f64_e32 v[8:9], v[98:99], v[96:97]
	s_delay_alu instid0(VALU_DEP_2) | instskip(NEXT) | instid1(VALU_DEP_2)
	v_fma_f64 v[96:97], v[98:99], v[94:95], -v[1:2]
	v_fma_f64 v[98:99], v[100:101], v[94:95], v[8:9]
	;; [unrolled: 7-line block ×5, first 2 shown]
	global_load_b128 v[118:121], v0, s[0:1] offset:22880
	s_wait_loadcnt_dscnt 0x11
	v_mul_f64_e32 v[1:2], v[124:125], v[120:121]
	v_mul_f64_e32 v[8:9], v[122:123], v[120:121]
	s_delay_alu instid0(VALU_DEP_2) | instskip(NEXT) | instid1(VALU_DEP_2)
	v_fma_f64 v[120:121], v[122:123], v[118:119], -v[1:2]
	v_fma_f64 v[122:123], v[124:125], v[118:119], v[8:9]
	global_load_b128 v[124:127], v0, s[0:1] offset:27280
	s_wait_loadcnt 0x0
	v_mul_f64_e32 v[1:2], v[130:131], v[126:127]
	v_mul_f64_e32 v[8:9], v[128:129], v[126:127]
	s_delay_alu instid0(VALU_DEP_2) | instskip(NEXT) | instid1(VALU_DEP_2)
	v_fma_f64 v[126:127], v[128:129], v[124:125], -v[1:2]
	v_fma_f64 v[128:129], v[130:131], v[124:125], v[8:9]
	global_load_b128 v[130:133], v0, s[0:1] offset:1760
	s_wait_loadcnt_dscnt 0xf
	v_mul_f64_e32 v[1:2], v[136:137], v[132:133]
	v_mul_f64_e32 v[8:9], v[134:135], v[132:133]
	s_delay_alu instid0(VALU_DEP_2) | instskip(NEXT) | instid1(VALU_DEP_2)
	v_fma_f64 v[132:133], v[134:135], v[130:131], -v[1:2]
	v_fma_f64 v[134:135], v[136:137], v[130:131], v[8:9]
	global_load_b128 v[136:139], v0, s[0:1] offset:6160
	s_wait_loadcnt_dscnt 0xd
	;; [unrolled: 7-line block ×5, first 2 shown]
	v_mul_f64_e32 v[1:2], v[160:161], v[156:157]
	v_mul_f64_e32 v[8:9], v[158:159], v[156:157]
	s_delay_alu instid0(VALU_DEP_2) | instskip(NEXT) | instid1(VALU_DEP_2)
	v_fma_f64 v[156:157], v[158:159], v[154:155], -v[1:2]
	v_fma_f64 v[158:159], v[160:161], v[154:155], v[8:9]
	global_load_b128 v[160:163], v0, s[0:1] offset:23760
	s_wait_loadcnt 0x0
	v_mul_f64_e32 v[1:2], v[166:167], v[162:163]
	v_mul_f64_e32 v[8:9], v[164:165], v[162:163]
	s_delay_alu instid0(VALU_DEP_2) | instskip(NEXT) | instid1(VALU_DEP_2)
	v_fma_f64 v[162:163], v[164:165], v[160:161], -v[1:2]
	v_fma_f64 v[164:165], v[166:167], v[160:161], v[8:9]
	global_load_b128 v[166:169], v0, s[0:1] offset:28160
	s_wait_loadcnt_dscnt 0x6
	v_mul_f64_e32 v[1:2], v[172:173], v[168:169]
	v_mul_f64_e32 v[8:9], v[170:171], v[168:169]
	s_delay_alu instid0(VALU_DEP_2) | instskip(NEXT) | instid1(VALU_DEP_2)
	v_fma_f64 v[168:169], v[170:171], v[166:167], -v[1:2]
	v_fma_f64 v[170:171], v[172:173], v[166:167], v[8:9]
	global_load_b128 v[172:175], v0, s[0:1] offset:2640
	s_wait_loadcnt 0x0
	v_mul_f64_e32 v[1:2], v[182:183], v[174:175]
	v_mul_f64_e32 v[8:9], v[180:181], v[174:175]
	s_delay_alu instid0(VALU_DEP_2) | instskip(NEXT) | instid1(VALU_DEP_2)
	v_fma_f64 v[174:175], v[180:181], v[172:173], -v[1:2]
	v_fma_f64 v[176:177], v[182:183], v[172:173], v[8:9]
	global_load_b128 v[180:183], v0, s[0:1] offset:7040
	s_wait_loadcnt 0x0
	v_mul_f64_e32 v[1:2], v[186:187], v[182:183]
	v_mul_f64_e32 v[8:9], v[184:185], v[182:183]
	s_delay_alu instid0(VALU_DEP_2) | instskip(NEXT) | instid1(VALU_DEP_2)
	v_fma_f64 v[182:183], v[184:185], v[180:181], -v[1:2]
	v_fma_f64 v[184:185], v[186:187], v[180:181], v[8:9]
	s_clause 0x1
	global_load_b128 v[186:189], v0, s[0:1] offset:11440
	global_load_b128 v[178:181], v0, s[0:1] offset:3520
	s_wait_loadcnt 0x1
	v_mul_f64_e32 v[1:2], v[192:193], v[188:189]
	v_mul_f64_e32 v[8:9], v[190:191], v[188:189]
	s_delay_alu instid0(VALU_DEP_2) | instskip(NEXT) | instid1(VALU_DEP_2)
	v_fma_f64 v[188:189], v[190:191], v[186:187], -v[1:2]
	v_fma_f64 v[190:191], v[192:193], v[186:187], v[8:9]
	global_load_b128 v[192:195], v0, s[0:1] offset:15840
	s_wait_loadcnt_dscnt 0x0
	v_mul_f64_e32 v[1:2], v[198:199], v[194:195]
	v_mul_f64_e32 v[8:9], v[196:197], v[194:195]
	s_delay_alu instid0(VALU_DEP_2) | instskip(NEXT) | instid1(VALU_DEP_2)
	v_fma_f64 v[194:195], v[196:197], v[192:193], -v[1:2]
	v_fma_f64 v[196:197], v[198:199], v[192:193], v[8:9]
	global_load_b128 v[198:201], v0, s[0:1] offset:20240
	s_wait_loadcnt 0x0
	v_mul_f64_e32 v[1:2], v[204:205], v[200:201]
	v_mul_f64_e32 v[8:9], v[202:203], v[200:201]
	s_delay_alu instid0(VALU_DEP_2) | instskip(NEXT) | instid1(VALU_DEP_2)
	v_fma_f64 v[200:201], v[202:203], v[198:199], -v[1:2]
	v_fma_f64 v[202:203], v[204:205], v[198:199], v[8:9]
	global_load_b128 v[204:207], v0, s[0:1] offset:24640
	s_wait_loadcnt 0x0
	v_mul_f64_e32 v[1:2], v[210:211], v[206:207]
	v_mul_f64_e32 v[8:9], v[208:209], v[206:207]
	s_delay_alu instid0(VALU_DEP_2) | instskip(NEXT) | instid1(VALU_DEP_2)
	v_fma_f64 v[206:207], v[208:209], v[204:205], -v[1:2]
	v_fma_f64 v[208:209], v[210:211], v[204:205], v[8:9]
	v_mul_f64_e32 v[1:2], v[230:231], v[226:227]
	v_mul_f64_e32 v[8:9], v[228:229], v[226:227]
	ds_load_b128 v[210:213], v220 offset:3520
	v_fma_f64 v[226:227], v[228:229], v[224:225], -v[1:2]
	v_fma_f64 v[228:229], v[230:231], v[224:225], v[8:9]
	s_wait_dscnt 0x0
	v_mul_f64_e32 v[1:2], v[212:213], v[180:181]
	v_mul_f64_e32 v[8:9], v[210:211], v[180:181]
	ds_load_b128 v[230:233], v220 offset:12320
	v_fma_f64 v[210:211], v[210:211], v[178:179], -v[1:2]
	v_fma_f64 v[212:213], v[212:213], v[178:179], v[8:9]
	global_load_b128 v[178:181], v0, s[0:1] offset:7920
	s_wait_loadcnt 0x0
	v_mul_f64_e32 v[1:2], v[216:217], v[180:181]
	v_mul_f64_e32 v[8:9], v[214:215], v[180:181]
	s_delay_alu instid0(VALU_DEP_2) | instskip(NEXT) | instid1(VALU_DEP_2)
	v_fma_f64 v[214:215], v[214:215], v[178:179], -v[1:2]
	v_fma_f64 v[216:217], v[216:217], v[178:179], v[8:9]
	global_load_b128 v[178:181], v0, s[0:1] offset:12320
	s_wait_loadcnt_dscnt 0x0
	v_mul_f64_e32 v[1:2], v[232:233], v[180:181]
	v_mul_f64_e32 v[8:9], v[230:231], v[180:181]
	s_delay_alu instid0(VALU_DEP_2) | instskip(NEXT) | instid1(VALU_DEP_2)
	v_fma_f64 v[230:231], v[230:231], v[178:179], -v[1:2]
	v_fma_f64 v[232:233], v[232:233], v[178:179], v[8:9]
	global_load_b128 v[178:181], v0, s[0:1] offset:16720
	s_wait_loadcnt 0x0
	v_mul_f64_e32 v[1:2], v[236:237], v[180:181]
	v_mul_f64_e32 v[8:9], v[234:235], v[180:181]
	s_delay_alu instid0(VALU_DEP_2) | instskip(NEXT) | instid1(VALU_DEP_2)
	v_fma_f64 v[234:235], v[234:235], v[178:179], -v[1:2]
	v_fma_f64 v[236:237], v[236:237], v[178:179], v[8:9]
	global_load_b128 v[178:181], v0, s[0:1] offset:21120
	s_wait_loadcnt 0x0
	v_mul_f64_e32 v[1:2], v[240:241], v[180:181]
	v_mul_f64_e32 v[8:9], v[238:239], v[180:181]
	s_delay_alu instid0(VALU_DEP_2) | instskip(NEXT) | instid1(VALU_DEP_2)
	v_fma_f64 v[238:239], v[238:239], v[178:179], -v[1:2]
	v_fma_f64 v[240:241], v[240:241], v[178:179], v[8:9]
	global_load_b128 v[178:181], v0, s[0:1] offset:25520
	s_wait_loadcnt 0x0
	v_mul_f64_e32 v[1:2], v[244:245], v[180:181]
	v_mul_f64_e32 v[8:9], v[242:243], v[180:181]
	s_delay_alu instid0(VALU_DEP_2)
	v_fma_f64 v[242:243], v[242:243], v[178:179], -v[1:2]
	global_load_b128 v[0:3], v0, s[0:1] offset:29920
	v_fma_f64 v[244:245], v[244:245], v[178:179], v[8:9]
	ds_load_b128 v[178:181], v220 offset:29920
	s_mov_b32 s0, 0x37c3f68c
	s_mov_b32 s1, 0xbfdc38aa
	s_wait_loadcnt_dscnt 0x0
	v_mul_f64_e32 v[8:9], v[180:181], v[2:3]
	v_mul_f64_e32 v[2:3], v[178:179], v[2:3]
	s_delay_alu instid0(VALU_DEP_2) | instskip(NEXT) | instid1(VALU_DEP_2)
	v_fma_f64 v[178:179], v[178:179], v[0:1], -v[8:9]
	v_fma_f64 v[180:181], v[180:181], v[0:1], v[2:3]
	ds_store_b128 v220, v[48:51]
	ds_store_b128 v220, v[90:93] offset:880
	ds_store_b128 v220, v[60:63] offset:8800
	;; [unrolled: 1-line block ×34, first 2 shown]
	global_wb scope:SCOPE_SE
	s_wait_dscnt 0x0
	s_barrier_signal -1
	s_barrier_wait -1
	global_inv scope:SCOPE_SE
	ds_load_b128 v[0:3], v220 offset:4400
	ds_load_b128 v[48:51], v220 offset:26400
	s_wait_dscnt 0x0
	v_add_f64_e32 v[116:117], v[0:1], v[48:49]
	v_add_f64_e32 v[118:119], v[2:3], v[50:51]
	v_add_f64_e64 v[120:121], v[0:1], -v[48:49]
	v_add_f64_e64 v[122:123], v[2:3], -v[50:51]
	ds_load_b128 v[0:3], v220 offset:22000
	ds_load_b128 v[48:51], v220 offset:8800
	s_wait_dscnt 0x0
	v_add_f64_e32 v[166:167], v[48:49], v[0:1]
	v_add_f64_e32 v[164:165], v[50:51], v[2:3]
	v_add_f64_e64 v[162:163], v[48:49], -v[0:1]
	v_add_f64_e64 v[160:161], v[50:51], -v[2:3]
	;; [unrolled: 7-line block ×3, first 2 shown]
	ds_load_b128 v[0:3], v220 offset:27280
	ds_load_b128 v[52:55], v220 offset:5280
	v_add_f64_e64 v[12:13], v[166:167], -v[116:117]
	v_add_f64_e64 v[16:17], v[164:165], -v[118:119]
	;; [unrolled: 1-line block ×4, first 2 shown]
	s_wait_dscnt 0x0
	v_add_f64_e32 v[48:49], v[52:53], v[0:1]
	v_add_f64_e32 v[50:51], v[54:55], v[2:3]
	v_add_f64_e64 v[52:53], v[52:53], -v[0:1]
	v_add_f64_e64 v[54:55], v[54:55], -v[2:3]
	ds_load_b128 v[0:3], v220 offset:9680
	ds_load_b128 v[56:59], v220 offset:22880
	v_add_f64_e64 v[14:15], v[144:145], -v[166:167]
	v_add_f64_e64 v[18:19], v[146:147], -v[164:165]
	;; [unrolled: 1-line block ×3, first 2 shown]
	s_wait_dscnt 0x0
	v_add_f64_e32 v[94:95], v[0:1], v[56:57]
	v_add_f64_e32 v[92:93], v[2:3], v[58:59]
	v_add_f64_e64 v[90:91], v[0:1], -v[56:57]
	v_add_f64_e64 v[88:89], v[2:3], -v[58:59]
	ds_load_b128 v[0:3], v220 offset:18480
	ds_load_b128 v[60:63], v220 offset:14080
	s_wait_dscnt 0x0
	v_add_f64_e32 v[56:57], v[60:61], v[0:1]
	v_add_f64_e32 v[58:59], v[62:63], v[2:3]
	v_add_f64_e64 v[60:61], v[0:1], -v[60:61]
	v_add_f64_e64 v[62:63], v[2:3], -v[62:63]
	ds_load_b128 v[0:3], v220 offset:6160
	ds_load_b128 v[68:71], v220 offset:28160
	v_mul_f64_e32 v[170:171], s[12:13], v[170:171]
	s_wait_dscnt 0x0
	v_add_f64_e32 v[64:65], v[0:1], v[68:69]
	v_add_f64_e32 v[66:67], v[2:3], v[70:71]
	v_add_f64_e64 v[68:69], v[0:1], -v[68:69]
	v_add_f64_e64 v[70:71], v[2:3], -v[70:71]
	ds_load_b128 v[0:3], v220 offset:23760
	ds_load_b128 v[72:75], v220 offset:10560
	s_wait_dscnt 0x0
	v_add_f64_e32 v[126:127], v[72:73], v[0:1]
	v_add_f64_e32 v[124:125], v[74:75], v[2:3]
	v_add_f64_e64 v[114:115], v[72:73], -v[0:1]
	v_add_f64_e64 v[112:113], v[74:75], -v[2:3]
	ds_load_b128 v[0:3], v220 offset:14960
	ds_load_b128 v[76:79], v220 offset:19360
	;; [unrolled: 7-line block ×8, first 2 shown]
	s_wait_dscnt 0x0
	v_add_f64_e32 v[130:131], v[134:135], v[0:1]
	v_add_f64_e64 v[134:135], v[0:1], -v[134:135]
	v_add_f64_e32 v[0:1], v[166:167], v[116:117]
	v_add_f64_e64 v[166:167], v[148:149], -v[162:163]
	v_add_f64_e64 v[116:117], v[116:117], -v[144:145]
	v_add_f64_e32 v[132:133], v[136:137], v[2:3]
	v_add_f64_e64 v[136:137], v[2:3], -v[136:137]
	v_add_f64_e32 v[8:9], v[144:145], v[0:1]
	v_add_f64_e32 v[0:1], v[164:165], v[118:119]
	;; [unrolled: 1-line block ×4, first 2 shown]
	v_add_f64_e64 v[118:119], v[118:119], -v[146:147]
	v_mul_f64_e32 v[178:179], s[12:13], v[166:167]
	v_mul_f64_e32 v[160:161], s[8:9], v[14:15]
	v_add_f64_e64 v[144:145], v[120:121], -v[148:149]
	s_wait_alu 0xfffe
	v_mul_f64_e32 v[148:149], s[20:21], v[116:117]
	v_add_f64_e32 v[10:11], v[146:147], v[0:1]
	ds_load_b128 v[0:3], v220
	v_add_f64_e32 v[174:175], v[164:165], v[120:121]
	v_add_f64_e32 v[176:177], v[162:163], v[122:123]
	v_mul_f64_e32 v[162:163], s[8:9], v[18:19]
	v_add_f64_e64 v[146:147], v[122:123], -v[150:151]
	v_mul_f64_e32 v[120:121], s[10:11], v[168:169]
	v_mul_f64_e32 v[122:123], s[10:11], v[172:173]
	;; [unrolled: 1-line block ×3, first 2 shown]
	v_fma_f64 v[160:161], v[12:13], s[14:15], -v[160:161]
	v_fma_f64 v[164:165], v[168:169], s[10:11], -v[178:179]
	;; [unrolled: 1-line block ×3, first 2 shown]
	v_fma_f64 v[14:15], v[14:15], s[8:9], v[148:149]
	s_wait_dscnt 0x0
	v_add_f64_e32 v[0:1], v[0:1], v[8:9]
	v_add_f64_e32 v[2:3], v[2:3], v[10:11]
	v_fma_f64 v[162:163], v[16:17], s[14:15], -v[162:163]
	v_fma_f64 v[116:117], v[144:145], s[24:25], -v[120:121]
	;; [unrolled: 1-line block ×4, first 2 shown]
	v_fma_f64 v[18:19], v[18:19], s[8:9], v[150:151]
	v_fma_f64 v[166:167], v[174:175], s[0:1], v[164:165]
	v_fma_f64 v[164:165], v[172:173], s[10:11], -v[170:171]
	v_fma_f64 v[8:9], v[8:9], s[18:19], v[0:1]
	v_fma_f64 v[10:11], v[10:11], s[18:19], v[2:3]
	;; [unrolled: 1-line block ×5, first 2 shown]
	v_add_f64_e32 v[12:13], v[12:13], v[8:9]
	v_add_f64_e32 v[180:181], v[160:161], v[8:9]
	;; [unrolled: 1-line block ×3, first 2 shown]
	v_add_f64_e64 v[14:15], v[56:57], -v[94:95]
	v_add_f64_e32 v[16:17], v[16:17], v[10:11]
	v_add_f64_e32 v[182:183], v[162:163], v[10:11]
	;; [unrolled: 1-line block ×3, first 2 shown]
	v_add_f64_e64 v[18:19], v[58:59], -v[92:93]
	v_add_f64_e32 v[116:117], v[12:13], v[120:121]
	v_add_f64_e64 v[120:121], v[12:13], -v[120:121]
	v_fma_f64 v[12:13], v[144:145], s[16:17], v[178:179]
	v_add_f64_e64 v[160:161], v[180:181], -v[164:165]
	v_add_f64_e32 v[164:165], v[180:181], v[164:165]
	v_add_f64_e64 v[118:119], v[16:17], -v[122:123]
	v_add_f64_e32 v[122:123], v[122:123], v[16:17]
	v_fma_f64 v[16:17], v[146:147], s[16:17], v[170:171]
	v_add_f64_e32 v[162:163], v[166:167], v[182:183]
	v_add_f64_e64 v[166:167], v[182:183], -v[166:167]
	v_fma_f64 v[12:13], v[174:175], s[0:1], v[12:13]
	s_delay_alu instid0(VALU_DEP_4)
	v_fma_f64 v[16:17], v[176:177], s[0:1], v[16:17]
	ds_load_b128 v[168:171], v220 offset:3520
	ds_load_b128 v[172:175], v220 offset:880
	;; [unrolled: 1-line block ×4, first 2 shown]
	global_wb scope:SCOPE_SE
	s_wait_dscnt 0x0
	s_barrier_signal -1
	s_barrier_wait -1
	global_inv scope:SCOPE_SE
	scratch_load_b32 v4, off, off offset:900 th:TH_LOAD_LU ; 4-byte Folded Reload
	v_add_f64_e64 v[146:147], v[10:11], -v[12:13]
	v_add_f64_e32 v[150:151], v[12:13], v[10:11]
	v_add_f64_e64 v[12:13], v[94:95], -v[48:49]
	v_add_f64_e32 v[144:145], v[8:9], v[16:17]
	v_add_f64_e64 v[148:149], v[8:9], -v[16:17]
	s_wait_loadcnt 0x0
	ds_store_b128 v4, v[0:3]
	ds_store_b128 v4, v[144:147] offset:16
	ds_store_b128 v4, v[116:119] offset:32
	;; [unrolled: 1-line block ×6, first 2 shown]
	v_add_f64_e32 v[0:1], v[94:95], v[48:49]
	scratch_load_b32 v4, off, off offset:1360 th:TH_LOAD_LU ; 4-byte Folded Reload
	v_add_f64_e64 v[16:17], v[92:93], -v[50:51]
	v_add_f64_e64 v[94:95], v[60:61], -v[90:91]
	;; [unrolled: 1-line block ×6, first 2 shown]
	v_add_f64_e32 v[8:9], v[56:57], v[0:1]
	v_add_f64_e32 v[0:1], v[92:93], v[50:51]
	;; [unrolled: 1-line block ×4, first 2 shown]
	v_add_f64_e64 v[50:51], v[50:51], -v[58:59]
	v_mul_f64_e32 v[88:89], s[8:9], v[14:15]
	v_add_f64_e64 v[56:57], v[52:53], -v[60:61]
	v_mul_f64_e32 v[60:61], s[20:21], v[48:49]
	v_mul_f64_e32 v[146:147], s[12:13], v[94:95]
	;; [unrolled: 1-line block ×3, first 2 shown]
	v_add_f64_e32 v[10:11], v[58:59], v[0:1]
	v_add_f64_e32 v[0:1], v[172:173], v[8:9]
	;; [unrolled: 1-line block ×4, first 2 shown]
	v_mul_f64_e32 v[90:91], s[8:9], v[18:19]
	v_add_f64_e64 v[58:59], v[54:55], -v[62:63]
	v_mul_f64_e32 v[52:53], s[10:11], v[116:117]
	v_mul_f64_e32 v[54:55], s[10:11], v[120:121]
	;; [unrolled: 1-line block ×3, first 2 shown]
	v_fma_f64 v[88:89], v[12:13], s[14:15], -v[88:89]
	v_fma_f64 v[12:13], v[12:13], s[22:23], -v[60:61]
	v_fma_f64 v[92:93], v[116:117], s[10:11], -v[146:147]
	v_fma_f64 v[14:15], v[14:15], s[8:9], v[60:61]
	v_add_f64_e32 v[2:3], v[174:175], v[10:11]
	v_fma_f64 v[8:9], v[8:9], s[18:19], v[0:1]
	v_fma_f64 v[90:91], v[16:17], s[14:15], -v[90:91]
	v_fma_f64 v[48:49], v[56:57], s[24:25], -v[52:53]
	;; [unrolled: 1-line block ×4, first 2 shown]
	v_fma_f64 v[18:19], v[18:19], s[8:9], v[62:63]
	v_fma_f64 v[94:95], v[122:123], s[0:1], v[92:93]
	v_fma_f64 v[92:93], v[120:121], s[10:11], -v[118:119]
	v_fma_f64 v[10:11], v[10:11], s[18:19], v[2:3]
	v_add_f64_e32 v[12:13], v[12:13], v[8:9]
	v_add_f64_e32 v[148:149], v[88:89], v[8:9]
	;; [unrolled: 1-line block ×3, first 2 shown]
	v_add_f64_e64 v[14:15], v[72:73], -v[126:127]
	v_fma_f64 v[54:55], v[122:123], s[0:1], v[48:49]
	v_fma_f64 v[52:53], v[144:145], s[0:1], v[50:51]
	;; [unrolled: 1-line block ×3, first 2 shown]
	v_add_f64_e32 v[16:17], v[16:17], v[10:11]
	v_add_f64_e32 v[150:151], v[90:91], v[10:11]
	;; [unrolled: 1-line block ×3, first 2 shown]
	v_add_f64_e64 v[18:19], v[74:75], -v[124:125]
	v_add_f64_e32 v[48:49], v[12:13], v[52:53]
	v_add_f64_e64 v[52:53], v[12:13], -v[52:53]
	v_fma_f64 v[12:13], v[56:57], s[16:17], v[146:147]
	v_add_f64_e64 v[88:89], v[148:149], -v[92:93]
	v_add_f64_e32 v[92:93], v[148:149], v[92:93]
	v_add_f64_e64 v[50:51], v[16:17], -v[54:55]
	v_add_f64_e32 v[54:55], v[54:55], v[16:17]
	v_fma_f64 v[16:17], v[58:59], s[16:17], v[118:119]
	v_add_f64_e32 v[90:91], v[94:95], v[150:151]
	v_add_f64_e64 v[94:95], v[150:151], -v[94:95]
	v_fma_f64 v[12:13], v[122:123], s[0:1], v[12:13]
	s_delay_alu instid0(VALU_DEP_4) | instskip(NEXT) | instid1(VALU_DEP_2)
	v_fma_f64 v[16:17], v[144:145], s[0:1], v[16:17]
	v_add_f64_e64 v[58:59], v[10:11], -v[12:13]
	v_add_f64_e32 v[62:63], v[12:13], v[10:11]
	v_add_f64_e64 v[12:13], v[126:127], -v[64:65]
	s_delay_alu instid0(VALU_DEP_4)
	v_add_f64_e32 v[56:57], v[8:9], v[16:17]
	v_add_f64_e64 v[60:61], v[8:9], -v[16:17]
	s_wait_loadcnt 0x0
	ds_store_b128 v4, v[0:3]
	ds_store_b128 v4, v[56:59] offset:16
	ds_store_b128 v4, v[48:51] offset:32
	;; [unrolled: 1-line block ×6, first 2 shown]
	v_add_f64_e32 v[0:1], v[126:127], v[64:65]
	v_add_f64_e64 v[50:51], v[76:77], -v[114:115]
	v_add_f64_e32 v[48:49], v[76:77], v[114:115]
	v_add_f64_e64 v[56:57], v[114:115], -v[68:69]
	;; [unrolled: 2-line block ×3, first 2 shown]
	v_add_f64_e64 v[16:17], v[124:125], -v[66:67]
	v_add_f64_e64 v[58:59], v[112:113], -v[70:71]
	scratch_load_b32 v4, off, off offset:1380 th:TH_LOAD_LU ; 4-byte Folded Reload
	v_add_f64_e32 v[8:9], v[72:73], v[0:1]
	v_add_f64_e32 v[0:1], v[124:125], v[66:67]
	v_mul_f64_e32 v[92:93], s[12:13], v[50:51]
	v_add_f64_e32 v[88:89], v[48:49], v[68:69]
	v_add_f64_e32 v[90:91], v[52:53], v[70:71]
	v_mul_f64_e32 v[94:95], s[12:13], v[54:55]
	v_mul_f64_e32 v[48:49], s[8:9], v[14:15]
	;; [unrolled: 1-line block ×3, first 2 shown]
	v_add_f64_e32 v[10:11], v[74:75], v[0:1]
	v_add_f64_e32 v[0:1], v[176:177], v[8:9]
	v_fma_f64 v[52:53], v[56:57], s[10:11], -v[92:93]
	v_mul_f64_e32 v[56:57], s[10:11], v[56:57]
	v_fma_f64 v[48:49], v[12:13], s[14:15], -v[48:49]
	v_fma_f64 v[50:51], v[16:17], s[14:15], -v[50:51]
	v_add_f64_e32 v[2:3], v[178:179], v[10:11]
	v_fma_f64 v[8:9], v[8:9], s[18:19], v[0:1]
	v_fma_f64 v[54:55], v[88:89], s[0:1], v[52:53]
	v_fma_f64 v[52:53], v[58:59], s[10:11], -v[94:95]
	v_mul_f64_e32 v[58:59], s[10:11], v[58:59]
	v_fma_f64 v[10:11], v[10:11], s[18:19], v[2:3]
	v_add_f64_e32 v[60:61], v[48:49], v[8:9]
	s_delay_alu instid0(VALU_DEP_4) | instskip(NEXT) | instid1(VALU_DEP_3)
	v_fma_f64 v[52:53], v[90:91], s[0:1], v[52:53]
	v_add_f64_e32 v[62:63], v[50:51], v[10:11]
	s_delay_alu instid0(VALU_DEP_2)
	v_add_f64_e64 v[48:49], v[60:61], -v[52:53]
	v_add_f64_e32 v[52:53], v[60:61], v[52:53]
	v_add_f64_e64 v[60:61], v[64:65], -v[72:73]
	v_add_f64_e64 v[64:65], v[68:69], -v[76:77]
	;; [unrolled: 1-line block ×3, first 2 shown]
	v_add_f64_e32 v[50:51], v[54:55], v[62:63]
	v_add_f64_e64 v[54:55], v[62:63], -v[54:55]
	v_add_f64_e64 v[62:63], v[66:67], -v[74:75]
	;; [unrolled: 1-line block ×4, first 2 shown]
	v_mul_f64_e32 v[68:69], s[20:21], v[60:61]
	v_fma_f64 v[56:57], v[64:65], s[24:25], -v[56:57]
	v_mul_f64_e32 v[70:71], s[20:21], v[62:63]
	v_fma_f64 v[58:59], v[66:67], s[24:25], -v[58:59]
	s_delay_alu instid0(VALU_DEP_4) | instskip(NEXT) | instid1(VALU_DEP_4)
	v_fma_f64 v[12:13], v[12:13], s[22:23], -v[68:69]
	v_fma_f64 v[62:63], v[88:89], s[0:1], v[56:57]
	v_fma_f64 v[14:15], v[14:15], s[8:9], v[68:69]
	v_fma_f64 v[16:17], v[16:17], s[22:23], -v[70:71]
	v_fma_f64 v[60:61], v[90:91], s[0:1], v[58:59]
	v_fma_f64 v[18:19], v[18:19], s[8:9], v[70:71]
	v_add_f64_e32 v[12:13], v[12:13], v[8:9]
	v_add_f64_e32 v[8:9], v[14:15], v[8:9]
	v_add_f64_e64 v[14:15], v[104:105], -v[152:153]
	v_add_f64_e32 v[16:17], v[16:17], v[10:11]
	v_add_f64_e32 v[10:11], v[18:19], v[10:11]
	;; [unrolled: 1-line block ×3, first 2 shown]
	v_add_f64_e64 v[60:61], v[12:13], -v[60:61]
	v_fma_f64 v[12:13], v[64:65], s[16:17], v[92:93]
	v_add_f64_e64 v[18:19], v[106:107], -v[140:141]
	v_add_f64_e64 v[58:59], v[16:17], -v[62:63]
	v_add_f64_e32 v[62:63], v[62:63], v[16:17]
	v_fma_f64 v[16:17], v[66:67], s[16:17], v[94:95]
	v_fma_f64 v[12:13], v[88:89], s[0:1], v[12:13]
	s_delay_alu instid0(VALU_DEP_2) | instskip(NEXT) | instid1(VALU_DEP_2)
	v_fma_f64 v[16:17], v[90:91], s[0:1], v[16:17]
	v_add_f64_e64 v[66:67], v[10:11], -v[12:13]
	v_add_f64_e32 v[70:71], v[12:13], v[10:11]
	v_add_f64_e64 v[12:13], v[152:153], -v[80:81]
	s_delay_alu instid0(VALU_DEP_4)
	v_add_f64_e32 v[64:65], v[8:9], v[16:17]
	v_add_f64_e64 v[68:69], v[8:9], -v[16:17]
	s_wait_loadcnt 0x0
	ds_store_b128 v4, v[0:3]
	ds_store_b128 v4, v[64:67] offset:16
	ds_store_b128 v4, v[56:59] offset:32
	;; [unrolled: 1-line block ×6, first 2 shown]
	v_add_f64_e32 v[0:1], v[152:153], v[80:81]
	v_add_f64_e64 v[48:49], v[110:111], -v[138:139]
	v_add_f64_e64 v[16:17], v[140:141], -v[82:83]
	v_add_f64_e32 v[50:51], v[110:111], v[138:139]
	v_add_f64_e64 v[56:57], v[138:139], -v[86:87]
	v_mul_f64_e32 v[52:53], s[8:9], v[18:19]
	v_add_f64_e32 v[54:55], v[108:109], v[128:129]
	v_add_f64_e64 v[58:59], v[108:109], -v[128:129]
	v_add_f64_e64 v[60:61], v[128:129], -v[84:85]
	scratch_load_b32 v4, off, off offset:1268 th:TH_LOAD_LU ; 4-byte Folded Reload
	v_add_f64_e32 v[8:9], v[104:105], v[0:1]
	v_add_f64_e32 v[0:1], v[140:141], v[82:83]
	v_mul_f64_e32 v[64:65], s[12:13], v[48:49]
	v_mul_f64_e32 v[48:49], s[8:9], v[14:15]
	v_add_f64_e32 v[68:69], v[50:51], v[86:87]
	v_fma_f64 v[52:53], v[16:17], s[14:15], -v[52:53]
	v_add_f64_e32 v[66:67], v[54:55], v[84:85]
	v_mul_f64_e32 v[70:71], s[12:13], v[58:59]
	v_add_f64_e32 v[10:11], v[106:107], v[0:1]
	v_add_f64_e32 v[0:1], v[180:181], v[8:9]
	v_fma_f64 v[48:49], v[12:13], s[14:15], -v[48:49]
	s_delay_alu instid0(VALU_DEP_3) | instskip(NEXT) | instid1(VALU_DEP_3)
	v_add_f64_e32 v[2:3], v[182:183], v[10:11]
	v_fma_f64 v[8:9], v[8:9], s[18:19], v[0:1]
	s_delay_alu instid0(VALU_DEP_2) | instskip(NEXT) | instid1(VALU_DEP_2)
	v_fma_f64 v[10:11], v[10:11], s[18:19], v[2:3]
	v_add_f64_e32 v[54:55], v[48:49], v[8:9]
	v_fma_f64 v[48:49], v[56:57], s[10:11], -v[64:65]
	v_mul_f64_e32 v[56:57], s[10:11], v[56:57]
	s_delay_alu instid0(VALU_DEP_4) | instskip(NEXT) | instid1(VALU_DEP_3)
	v_add_f64_e32 v[58:59], v[52:53], v[10:11]
	v_fma_f64 v[52:53], v[68:69], s[0:1], v[48:49]
	v_fma_f64 v[48:49], v[60:61], s[10:11], -v[70:71]
	s_delay_alu instid0(VALU_DEP_4) | instskip(NEXT) | instid1(VALU_DEP_2)
	v_fma_f64 v[56:57], v[74:75], s[24:25], -v[56:57]
	v_fma_f64 v[62:63], v[66:67], s[0:1], v[48:49]
	s_delay_alu instid0(VALU_DEP_4) | instskip(SKIP_1) | instid1(VALU_DEP_3)
	v_add_f64_e64 v[48:49], v[54:55], -v[52:53]
	v_add_f64_e32 v[52:53], v[54:55], v[52:53]
	v_add_f64_e32 v[50:51], v[62:63], v[58:59]
	v_add_f64_e64 v[54:55], v[58:59], -v[62:63]
	v_add_f64_e64 v[58:59], v[80:81], -v[104:105]
	;; [unrolled: 1-line block ×3, first 2 shown]
	s_delay_alu instid0(VALU_DEP_2) | instskip(NEXT) | instid1(VALU_DEP_2)
	v_mul_f64_e32 v[76:77], s[20:21], v[58:59]
	v_mul_f64_e32 v[78:79], s[20:21], v[62:63]
	;; [unrolled: 1-line block ×3, first 2 shown]
	v_fma_f64 v[60:61], v[68:69], s[0:1], v[56:57]
	s_delay_alu instid0(VALU_DEP_4) | instskip(NEXT) | instid1(VALU_DEP_4)
	v_fma_f64 v[12:13], v[12:13], s[22:23], -v[76:77]
	v_fma_f64 v[16:17], v[16:17], s[22:23], -v[78:79]
	s_delay_alu instid0(VALU_DEP_4) | instskip(NEXT) | instid1(VALU_DEP_3)
	v_fma_f64 v[58:59], v[72:73], s[24:25], -v[58:59]
	v_add_f64_e32 v[12:13], v[12:13], v[8:9]
	s_delay_alu instid0(VALU_DEP_3) | instskip(NEXT) | instid1(VALU_DEP_3)
	v_add_f64_e32 v[16:17], v[16:17], v[10:11]
	v_fma_f64 v[62:63], v[66:67], s[0:1], v[58:59]
	s_delay_alu instid0(VALU_DEP_3) | instskip(SKIP_1) | instid1(VALU_DEP_3)
	v_add_f64_e32 v[56:57], v[12:13], v[60:61]
	v_add_f64_e64 v[60:61], v[12:13], -v[60:61]
	v_add_f64_e64 v[58:59], v[16:17], -v[62:63]
	v_add_f64_e32 v[62:63], v[62:63], v[16:17]
	v_fma_f64 v[12:13], v[14:15], s[8:9], v[76:77]
	v_fma_f64 v[14:15], v[18:19], s[8:9], v[78:79]
	;; [unrolled: 1-line block ×4, first 2 shown]
	v_add_f64_e64 v[74:75], v[100:101], -v[134:135]
	v_add_f64_e64 v[76:77], v[102:103], -v[136:137]
	v_add_f64_e32 v[8:9], v[12:13], v[8:9]
	v_add_f64_e32 v[10:11], v[14:15], v[10:11]
	v_fma_f64 v[12:13], v[68:69], s[0:1], v[16:17]
	v_fma_f64 v[14:15], v[66:67], s[0:1], v[18:19]
	v_add_f64_e64 v[18:19], v[132:133], -v[156:157]
	v_add_f64_e64 v[16:17], v[156:157], -v[98:99]
	s_delay_alu instid0(VALU_DEP_4) | instskip(NEXT) | instid1(VALU_DEP_4)
	v_add_f64_e32 v[64:65], v[8:9], v[12:13]
	v_add_f64_e64 v[66:67], v[10:11], -v[14:15]
	v_add_f64_e64 v[68:69], v[8:9], -v[12:13]
	v_add_f64_e32 v[70:71], v[14:15], v[10:11]
	s_wait_loadcnt 0x0
	ds_store_b128 v4, v[0:3]
	ds_store_b128 v4, v[64:67] offset:16
	ds_store_b128 v4, v[56:59] offset:32
	;; [unrolled: 1-line block ×6, first 2 shown]
	v_add_f64_e32 v[0:1], v[158:159], v[96:97]
	v_add_f64_e64 v[48:49], v[136:137], -v[154:155]
	v_mul_f64_e32 v[56:57], s[8:9], v[18:19]
	v_add_f64_e64 v[14:15], v[130:131], -v[158:159]
	v_add_f64_e32 v[50:51], v[136:137], v[154:155]
	v_add_f64_e64 v[52:53], v[154:155], -v[102:103]
	v_add_f64_e64 v[60:61], v[134:135], -v[142:143]
	;; [unrolled: 1-line block ×3, first 2 shown]
	v_add_f64_e32 v[58:59], v[134:135], v[142:143]
	v_add_f64_e64 v[64:65], v[142:143], -v[100:101]
	scratch_load_b32 v4, off, off offset:1200 th:TH_LOAD_LU ; 4-byte Folded Reload
	v_add_f64_e32 v[8:9], v[130:131], v[0:1]
	v_add_f64_e32 v[0:1], v[156:157], v[98:99]
	v_mul_f64_e32 v[54:55], s[12:13], v[48:49]
	v_fma_f64 v[56:57], v[16:17], s[14:15], -v[56:57]
	v_mul_f64_e32 v[48:49], s[8:9], v[14:15]
	v_add_f64_e32 v[70:71], v[50:51], v[102:103]
	v_mul_f64_e32 v[72:73], s[12:13], v[60:61]
	v_add_f64_e32 v[68:69], v[58:59], v[100:101]
	v_add_f64_e32 v[10:11], v[132:133], v[0:1]
	;; [unrolled: 1-line block ×3, first 2 shown]
	v_fma_f64 v[48:49], v[12:13], s[14:15], -v[48:49]
	s_delay_alu instid0(VALU_DEP_3) | instskip(NEXT) | instid1(VALU_DEP_3)
	v_add_f64_e32 v[2:3], v[170:171], v[10:11]
	v_fma_f64 v[8:9], v[8:9], s[18:19], v[0:1]
	s_delay_alu instid0(VALU_DEP_2) | instskip(NEXT) | instid1(VALU_DEP_2)
	v_fma_f64 v[10:11], v[10:11], s[18:19], v[2:3]
	v_add_f64_e32 v[48:49], v[48:49], v[8:9]
	s_delay_alu instid0(VALU_DEP_2) | instskip(SKIP_1) | instid1(VALU_DEP_1)
	v_add_f64_e32 v[50:51], v[56:57], v[10:11]
	v_fma_f64 v[56:57], v[52:53], s[10:11], -v[54:55]
	v_fma_f64 v[60:61], v[70:71], s[0:1], v[56:57]
	v_fma_f64 v[56:57], v[64:65], s[10:11], -v[72:73]
	s_delay_alu instid0(VALU_DEP_1) | instskip(NEXT) | instid1(VALU_DEP_3)
	v_fma_f64 v[62:63], v[68:69], s[0:1], v[56:57]
	v_add_f64_e64 v[56:57], v[48:49], -v[60:61]
	v_add_f64_e32 v[60:61], v[48:49], v[60:61]
	v_add_f64_e64 v[48:49], v[96:97], -v[130:131]
	s_delay_alu instid0(VALU_DEP_4) | instskip(SKIP_2) | instid1(VALU_DEP_4)
	v_add_f64_e32 v[58:59], v[62:63], v[50:51]
	v_add_f64_e64 v[62:63], v[50:51], -v[62:63]
	v_add_f64_e64 v[50:51], v[98:99], -v[132:133]
	v_mul_f64_e32 v[78:79], s[20:21], v[48:49]
	v_mul_f64_e32 v[48:49], s[10:11], v[52:53]
	s_delay_alu instid0(VALU_DEP_3) | instskip(SKIP_1) | instid1(VALU_DEP_4)
	v_mul_f64_e32 v[80:81], s[20:21], v[50:51]
	v_mul_f64_e32 v[50:51], s[10:11], v[64:65]
	v_fma_f64 v[12:13], v[12:13], s[22:23], -v[78:79]
	s_delay_alu instid0(VALU_DEP_4) | instskip(NEXT) | instid1(VALU_DEP_4)
	v_fma_f64 v[48:49], v[76:77], s[24:25], -v[48:49]
	v_fma_f64 v[16:17], v[16:17], s[22:23], -v[80:81]
	s_delay_alu instid0(VALU_DEP_4) | instskip(NEXT) | instid1(VALU_DEP_4)
	v_fma_f64 v[50:51], v[74:75], s[24:25], -v[50:51]
	v_add_f64_e32 v[12:13], v[12:13], v[8:9]
	s_delay_alu instid0(VALU_DEP_4) | instskip(NEXT) | instid1(VALU_DEP_4)
	v_fma_f64 v[48:49], v[70:71], s[0:1], v[48:49]
	v_add_f64_e32 v[16:17], v[16:17], v[10:11]
	s_delay_alu instid0(VALU_DEP_4) | instskip(NEXT) | instid1(VALU_DEP_3)
	v_fma_f64 v[50:51], v[68:69], s[0:1], v[50:51]
	v_add_f64_e32 v[64:65], v[12:13], v[48:49]
	v_add_f64_e64 v[48:49], v[12:13], -v[48:49]
	v_fma_f64 v[12:13], v[14:15], s[8:9], v[78:79]
	v_fma_f64 v[14:15], v[18:19], s[8:9], v[80:81]
	;; [unrolled: 1-line block ×3, first 2 shown]
	v_add_f64_e64 v[66:67], v[16:17], -v[50:51]
	v_add_f64_e32 v[50:51], v[50:51], v[16:17]
	v_fma_f64 v[16:17], v[76:77], s[16:17], v[54:55]
	v_add_f64_e32 v[8:9], v[12:13], v[8:9]
	v_add_f64_e32 v[10:11], v[14:15], v[10:11]
	v_fma_f64 v[14:15], v[68:69], s[0:1], v[18:19]
	s_delay_alu instid0(VALU_DEP_4) | instskip(NEXT) | instid1(VALU_DEP_2)
	v_fma_f64 v[12:13], v[70:71], s[0:1], v[16:17]
	v_add_f64_e64 v[70:71], v[10:11], -v[14:15]
	v_add_f64_e32 v[54:55], v[14:15], v[10:11]
	s_delay_alu instid0(VALU_DEP_3)
	v_add_f64_e32 v[68:69], v[8:9], v[12:13]
	v_add_f64_e64 v[52:53], v[8:9], -v[12:13]
	s_wait_loadcnt 0x0
	ds_store_b128 v4, v[0:3]
	ds_store_b128 v4, v[68:71] offset:16
	ds_store_b128 v4, v[64:67] offset:32
	;; [unrolled: 1-line block ×6, first 2 shown]
	global_wb scope:SCOPE_SE
	s_wait_dscnt 0x0
	s_barrier_signal -1
	s_barrier_wait -1
	global_inv scope:SCOPE_SE
	ds_load_b128 v[64:67], v220
	ds_load_b128 v[60:63], v220 offset:880
	ds_load_b128 v[184:187], v220 offset:5600
	;; [unrolled: 1-line block ×32, first 2 shown]
	s_and_saveexec_b32 s0, vcc_lo
	s_cbranch_execz .LBB0_7
; %bb.6:
	ds_load_b128 v[48:51], v220 offset:2640
	ds_load_b128 v[52:55], v220 offset:5440
	;; [unrolled: 1-line block ×3, first 2 shown]
	s_wait_dscnt 0x0
	scratch_store_b128 off, v[0:3], off offset:20 ; 16-byte Folded Spill
	ds_load_b128 v[0:3], v220 offset:11040
	s_wait_dscnt 0x0
	scratch_store_b128 off, v[0:3], off offset:4 ; 16-byte Folded Spill
	ds_load_b128 v[0:3], v220 offset:13840
	;; [unrolled: 3-line block ×8, first 2 shown]
	s_wait_dscnt 0x0
	scratch_store_b128 off, v[0:3], off offset:132 ; 16-byte Folded Spill
.LBB0_7:
	s_wait_alu 0xfffe
	s_or_b32 exec_lo, exec_lo, s0
	scratch_load_b128 v[2:5], off, off offset:1272 th:TH_LOAD_LU ; 16-byte Folded Reload
	s_mov_b32 s26, 0xf8bb580b
	s_mov_b32 s30, 0x8eee2c13
	;; [unrolled: 1-line block ×21, first 2 shown]
	s_wait_alu 0xfffe
	s_mov_b32 s34, s20
	s_mov_b32 s23, 0x3fe14ced
	;; [unrolled: 1-line block ×9, first 2 shown]
	s_wait_loadcnt_dscnt 0x14
	v_mul_f64_e32 v[0:1], v[4:5], v[194:195]
	s_delay_alu instid0(VALU_DEP_1) | instskip(SKIP_1) | instid1(VALU_DEP_1)
	v_fma_f64 v[226:227], v[2:3], v[192:193], v[0:1]
	v_mul_f64_e32 v[0:1], v[4:5], v[192:193]
	v_fma_f64 v[228:229], v[2:3], v[194:195], -v[0:1]
	scratch_load_b128 v[2:5], off, off offset:1820 th:TH_LOAD_LU ; 16-byte Folded Reload
	s_wait_loadcnt 0x0
	v_mul_f64_e32 v[0:1], v[4:5], v[186:187]
	s_delay_alu instid0(VALU_DEP_1) | instskip(SKIP_1) | instid1(VALU_DEP_1)
	v_fma_f64 v[172:173], v[2:3], v[184:185], v[0:1]
	v_mul_f64_e32 v[0:1], v[4:5], v[184:185]
	v_fma_f64 v[174:175], v[2:3], v[186:187], -v[0:1]
	scratch_load_b128 v[2:5], off, off offset:1804 th:TH_LOAD_LU ; 16-byte Folded Reload
	s_wait_loadcnt_dscnt 0x10
	v_mul_f64_e32 v[0:1], v[4:5], v[190:191]
	s_delay_alu instid0(VALU_DEP_1) | instskip(SKIP_1) | instid1(VALU_DEP_1)
	v_fma_f64 v[184:185], v[2:3], v[188:189], v[0:1]
	v_mul_f64_e32 v[0:1], v[4:5], v[188:189]
	v_fma_f64 v[186:187], v[2:3], v[190:191], -v[0:1]
	scratch_load_b128 v[2:5], off, off offset:1788 th:TH_LOAD_LU ; 16-byte Folded Reload
	s_wait_loadcnt 0x0
	v_mul_f64_e32 v[0:1], v[4:5], v[170:171]
	s_delay_alu instid0(VALU_DEP_1) | instskip(SKIP_1) | instid1(VALU_DEP_1)
	v_fma_f64 v[188:189], v[2:3], v[168:169], v[0:1]
	v_mul_f64_e32 v[0:1], v[4:5], v[168:169]
	v_fma_f64 v[168:169], v[2:3], v[170:171], -v[0:1]
	scratch_load_b128 v[2:5], off, off offset:1772 th:TH_LOAD_LU ; 16-byte Folded Reload
	s_wait_loadcnt_dscnt 0xc
	v_mul_f64_e32 v[0:1], v[4:5], v[182:183]
	s_delay_alu instid0(VALU_DEP_1) | instskip(SKIP_1) | instid1(VALU_DEP_1)
	v_fma_f64 v[170:171], v[2:3], v[180:181], v[0:1]
	v_mul_f64_e32 v[0:1], v[4:5], v[180:181]
	v_fma_f64 v[180:181], v[2:3], v[182:183], -v[0:1]
	scratch_load_b128 v[2:5], off, off offset:1756 th:TH_LOAD_LU ; 16-byte Folded Reload
	s_wait_loadcnt 0x0
	v_mul_f64_e32 v[0:1], v[4:5], v[162:163]
	s_delay_alu instid0(VALU_DEP_1) | instskip(SKIP_1) | instid1(VALU_DEP_2)
	v_fma_f64 v[182:183], v[2:3], v[160:161], v[0:1]
	v_mul_f64_e32 v[0:1], v[4:5], v[160:161]
	v_add_f64_e64 v[22:23], v[170:171], -v[182:183]
	s_delay_alu instid0(VALU_DEP_2) | instskip(SKIP_3) | instid1(VALU_DEP_2)
	v_fma_f64 v[190:191], v[2:3], v[162:163], -v[0:1]
	scratch_load_b128 v[2:5], off, off offset:2028 th:TH_LOAD_LU ; 16-byte Folded Reload
	v_add_f64_e64 v[254:255], v[180:181], -v[190:191]
	v_add_f64_e32 v[20:21], v[180:181], v[190:191]
	v_mul_f64_e32 v[6:7], s[20:21], v[254:255]
	s_wait_loadcnt_dscnt 0x8
	v_mul_f64_e32 v[0:1], v[4:5], v[166:167]
	s_delay_alu instid0(VALU_DEP_1) | instskip(SKIP_1) | instid1(VALU_DEP_2)
	v_fma_f64 v[192:193], v[2:3], v[164:165], v[0:1]
	v_mul_f64_e32 v[0:1], v[4:5], v[164:165]
	v_add_f64_e32 v[248:249], v[188:189], v[192:193]
	s_delay_alu instid0(VALU_DEP_2)
	v_fma_f64 v[166:167], v[2:3], v[166:167], -v[0:1]
	scratch_load_b128 v[2:5], off, off offset:2012 th:TH_LOAD_LU ; 16-byte Folded Reload
	v_add_f64_e64 v[252:253], v[188:189], -v[192:193]
	v_add_f64_e64 v[246:247], v[168:169], -v[166:167]
	v_add_f64_e32 v[250:251], v[168:169], v[166:167]
	s_wait_loadcnt 0x0
	v_mul_f64_e32 v[0:1], v[4:5], v[154:155]
	s_delay_alu instid0(VALU_DEP_1) | instskip(SKIP_1) | instid1(VALU_DEP_2)
	v_fma_f64 v[196:197], v[2:3], v[152:153], v[0:1]
	v_mul_f64_e32 v[0:1], v[4:5], v[152:153]
	v_add_f64_e32 v[240:241], v[184:185], v[196:197]
	s_delay_alu instid0(VALU_DEP_2)
	v_fma_f64 v[198:199], v[2:3], v[154:155], -v[0:1]
	scratch_load_b128 v[2:5], off, off offset:1964 th:TH_LOAD_LU ; 16-byte Folded Reload
	v_add_f64_e64 v[244:245], v[184:185], -v[196:197]
	v_add_f64_e64 v[238:239], v[186:187], -v[198:199]
	v_add_f64_e32 v[242:243], v[186:187], v[198:199]
	s_wait_loadcnt_dscnt 0x4
	v_mul_f64_e32 v[0:1], v[4:5], v[158:159]
	s_delay_alu instid0(VALU_DEP_1) | instskip(SKIP_1) | instid1(VALU_DEP_2)
	v_fma_f64 v[204:205], v[2:3], v[156:157], v[0:1]
	v_mul_f64_e32 v[0:1], v[4:5], v[156:157]
	v_add_f64_e32 v[232:233], v[172:173], v[204:205]
	s_delay_alu instid0(VALU_DEP_2)
	v_fma_f64 v[206:207], v[2:3], v[158:159], -v[0:1]
	scratch_load_b128 v[2:5], off, off offset:1916 th:TH_LOAD_LU ; 16-byte Folded Reload
	v_add_f64_e64 v[236:237], v[172:173], -v[204:205]
	v_add_f64_e64 v[230:231], v[174:175], -v[206:207]
	v_add_f64_e32 v[234:235], v[174:175], v[206:207]
	s_wait_loadcnt 0x0
	v_mul_f64_e32 v[0:1], v[4:5], v[150:151]
	s_delay_alu instid0(VALU_DEP_1) | instskip(SKIP_1) | instid1(VALU_DEP_2)
	v_fma_f64 v[208:209], v[2:3], v[148:149], v[0:1]
	v_mul_f64_e32 v[0:1], v[4:5], v[148:149]
	v_add_f64_e32 v[14:15], v[226:227], v[208:209]
	s_delay_alu instid0(VALU_DEP_2) | instskip(SKIP_3) | instid1(VALU_DEP_1)
	v_fma_f64 v[210:211], v[2:3], v[150:151], -v[0:1]
	scratch_load_b128 v[2:5], off, off offset:1996 th:TH_LOAD_LU ; 16-byte Folded Reload
	s_wait_loadcnt 0x0
	v_mul_f64_e32 v[0:1], v[4:5], v[146:147]
	v_fma_f64 v[162:163], v[2:3], v[144:145], v[0:1]
	v_mul_f64_e32 v[0:1], v[4:5], v[144:145]
	s_delay_alu instid0(VALU_DEP_1) | instskip(SKIP_3) | instid1(VALU_DEP_1)
	v_fma_f64 v[164:165], v[2:3], v[146:147], -v[0:1]
	scratch_load_b128 v[2:5], off, off offset:1948 th:TH_LOAD_LU ; 16-byte Folded Reload
	s_wait_loadcnt 0x0
	v_mul_f64_e32 v[0:1], v[4:5], v[138:139]
	v_fma_f64 v[152:153], v[2:3], v[136:137], v[0:1]
	v_mul_f64_e32 v[0:1], v[4:5], v[136:137]
	s_delay_alu instid0(VALU_DEP_1) | instskip(SKIP_3) | instid1(VALU_DEP_1)
	;; [unrolled: 7-line block ×3, first 2 shown]
	v_fma_f64 v[160:161], v[2:3], v[142:143], -v[0:1]
	scratch_load_b128 v[2:5], off, off offset:1724 th:TH_LOAD_LU ; 16-byte Folded Reload
	s_wait_loadcnt 0x0
	v_mul_f64_e32 v[0:1], v[4:5], v[130:131]
	v_fma_f64 v[146:147], v[2:3], v[128:129], v[0:1]
	v_mul_f64_e32 v[0:1], v[4:5], v[128:129]
	s_delay_alu instid0(VALU_DEP_1) | instskip(SKIP_4) | instid1(VALU_DEP_1)
	v_fma_f64 v[158:159], v[2:3], v[130:131], -v[0:1]
	scratch_load_b128 v[2:5], off, off offset:1852 th:TH_LOAD_LU ; 16-byte Folded Reload
	v_add_f64_e32 v[130:131], v[66:67], v[228:229]
	s_wait_loadcnt 0x0
	v_mul_f64_e32 v[0:1], v[4:5], v[134:135]
	v_fma_f64 v[140:141], v[2:3], v[132:133], v[0:1]
	v_mul_f64_e32 v[0:1], v[4:5], v[132:133]
	s_delay_alu instid0(VALU_DEP_1) | instskip(SKIP_3) | instid1(VALU_DEP_1)
	v_fma_f64 v[144:145], v[2:3], v[134:135], -v[0:1]
	scratch_load_b128 v[2:5], off, off offset:1836 th:TH_LOAD_LU ; 16-byte Folded Reload
	s_wait_loadcnt 0x0
	v_mul_f64_e32 v[0:1], v[4:5], v[126:127]
	v_fma_f64 v[142:143], v[2:3], v[124:125], v[0:1]
	v_mul_f64_e32 v[0:1], v[4:5], v[124:125]
	s_delay_alu instid0(VALU_DEP_1) | instskip(SKIP_3) | instid1(VALU_DEP_1)
	v_fma_f64 v[148:149], v[2:3], v[126:127], -v[0:1]
	scratch_load_b128 v[2:5], off, off offset:1292 th:TH_LOAD_LU ; 16-byte Folded Reload
	s_wait_loadcnt 0x0
	v_mul_f64_e32 v[0:1], v[4:5], v[122:123]
	v_fma_f64 v[150:151], v[2:3], v[120:121], v[0:1]
	v_mul_f64_e32 v[0:1], v[4:5], v[120:121]
	s_delay_alu instid0(VALU_DEP_1) | instskip(SKIP_3) | instid1(VALU_DEP_1)
	v_fma_f64 v[194:195], v[2:3], v[122:123], -v[0:1]
	scratch_load_b128 v[2:5], off, off offset:1308 th:TH_LOAD_LU ; 16-byte Folded Reload
	s_wait_loadcnt 0x0
	v_mul_f64_e32 v[0:1], v[4:5], v[114:115]
	v_fma_f64 v[212:213], v[2:3], v[112:113], v[0:1]
	v_mul_f64_e32 v[0:1], v[4:5], v[112:113]
	s_delay_alu instid0(VALU_DEP_1) | instskip(SKIP_3) | instid1(VALU_DEP_1)
	v_fma_f64 v[214:215], v[2:3], v[114:115], -v[0:1]
	scratch_load_b128 v[2:5], off, off offset:1324 th:TH_LOAD_LU ; 16-byte Folded Reload
	s_wait_loadcnt_dscnt 0x2
	v_mul_f64_e32 v[0:1], v[4:5], v[118:119]
	v_fma_f64 v[216:217], v[2:3], v[116:117], v[0:1]
	v_mul_f64_e32 v[0:1], v[4:5], v[116:117]
	s_delay_alu instid0(VALU_DEP_1) | instskip(SKIP_3) | instid1(VALU_DEP_1)
	v_fma_f64 v[218:219], v[2:3], v[118:119], -v[0:1]
	scratch_load_b128 v[2:5], off, off offset:1344 th:TH_LOAD_LU ; 16-byte Folded Reload
	s_wait_loadcnt 0x0
	v_mul_f64_e32 v[0:1], v[4:5], v[110:111]
	v_fma_f64 v[224:225], v[2:3], v[108:109], v[0:1]
	v_mul_f64_e32 v[0:1], v[4:5], v[108:109]
	s_delay_alu instid0(VALU_DEP_1) | instskip(SKIP_4) | instid1(VALU_DEP_1)
	v_fma_f64 v[128:129], v[2:3], v[110:111], -v[0:1]
	scratch_load_b128 v[2:5], off, off offset:1364 th:TH_LOAD_LU ; 16-byte Folded Reload
	v_add_f64_e32 v[110:111], v[64:65], v[226:227]
	s_wait_loadcnt 0x0
	v_mul_f64_e32 v[0:1], v[4:5], v[106:107]
	v_fma_f64 v[136:137], v[2:3], v[104:105], v[0:1]
	v_mul_f64_e32 v[0:1], v[4:5], v[104:105]
	s_delay_alu instid0(VALU_DEP_1) | instskip(SKIP_3) | instid1(VALU_DEP_1)
	v_fma_f64 v[138:139], v[2:3], v[106:107], -v[0:1]
	scratch_load_b128 v[2:5], off, off offset:1452 th:TH_LOAD_LU ; 16-byte Folded Reload
	s_wait_loadcnt 0x0
	v_mul_f64_e32 v[0:1], v[4:5], v[102:103]
	v_fma_f64 v[122:123], v[2:3], v[100:101], v[0:1]
	v_mul_f64_e32 v[0:1], v[4:5], v[100:101]
	s_delay_alu instid0(VALU_DEP_1) | instskip(SKIP_3) | instid1(VALU_DEP_1)
	v_fma_f64 v[126:127], v[2:3], v[102:103], -v[0:1]
	scratch_load_b128 v[2:5], off, off offset:1468 th:TH_LOAD_LU ; 16-byte Folded Reload
	s_wait_loadcnt 0x0
	v_mul_f64_e32 v[0:1], v[4:5], v[98:99]
	v_fma_f64 v[124:125], v[2:3], v[96:97], v[0:1]
	v_mul_f64_e32 v[0:1], v[4:5], v[96:97]
	s_delay_alu instid0(VALU_DEP_1) | instskip(SKIP_4) | instid1(VALU_DEP_1)
	v_fma_f64 v[132:133], v[2:3], v[98:99], -v[0:1]
	scratch_load_b128 v[2:5], off, off offset:1500 th:TH_LOAD_LU ; 16-byte Folded Reload
	v_add_f64_e64 v[98:99], v[226:227], -v[208:209]
	s_wait_loadcnt 0x0
	v_mul_f64_e32 v[0:1], v[4:5], v[94:95]
	v_fma_f64 v[118:119], v[2:3], v[92:93], v[0:1]
	v_mul_f64_e32 v[0:1], v[4:5], v[92:93]
	s_delay_alu instid0(VALU_DEP_1) | instskip(SKIP_3) | instid1(VALU_DEP_1)
	v_fma_f64 v[120:121], v[2:3], v[94:95], -v[0:1]
	scratch_load_b128 v[2:5], off, off offset:1628 th:TH_LOAD_LU ; 16-byte Folded Reload
	s_wait_loadcnt 0x0
	v_mul_f64_e32 v[0:1], v[4:5], v[90:91]
	v_fma_f64 v[112:113], v[2:3], v[88:89], v[0:1]
	v_mul_f64_e32 v[0:1], v[4:5], v[88:89]
	s_delay_alu instid0(VALU_DEP_1) | instskip(SKIP_3) | instid1(VALU_DEP_1)
	v_fma_f64 v[114:115], v[2:3], v[90:91], -v[0:1]
	scratch_load_b128 v[2:5], off, off offset:1692 th:TH_LOAD_LU ; 16-byte Folded Reload
	;; [unrolled: 7-line block ×5, first 2 shown]
	s_wait_loadcnt_dscnt 0x1
	v_mul_f64_e32 v[0:1], v[4:5], v[74:75]
	v_fma_f64 v[78:79], v[2:3], v[72:73], v[0:1]
	v_mul_f64_e32 v[0:1], v[4:5], v[72:73]
	s_delay_alu instid0(VALU_DEP_1)
	v_fma_f64 v[72:73], v[2:3], v[74:75], -v[0:1]
	scratch_load_b128 v[2:5], off, off offset:1152 th:TH_LOAD_LU ; 16-byte Folded Reload
	global_wb scope:SCOPE_SE
	s_wait_storecnt 0x0
	s_wait_loadcnt_dscnt 0x0
	s_barrier_signal -1
	s_barrier_wait -1
	global_inv scope:SCOPE_SE
	v_mul_f64_e32 v[0:1], v[4:5], v[70:71]
	s_delay_alu instid0(VALU_DEP_1) | instskip(SKIP_2) | instid1(VALU_DEP_2)
	v_fma_f64 v[74:75], v[2:3], v[68:69], v[0:1]
	v_mul_f64_e32 v[0:1], v[4:5], v[68:69]
	v_add_f64_e32 v[4:5], v[170:171], v[182:183]
	v_fma_f64 v[134:135], v[2:3], v[70:71], -v[0:1]
	v_add_f64_e64 v[0:1], v[228:229], -v[210:211]
	s_delay_alu instid0(VALU_DEP_1)
	v_mul_f64_e32 v[2:3], s[26:27], v[0:1]
	v_mul_f64_e32 v[8:9], s[30:31], v[0:1]
	;; [unrolled: 1-line block ×5, first 2 shown]
	v_fma_f64 v[16:17], v[14:15], s[0:1], v[2:3]
	v_fma_f64 v[2:3], v[14:15], s[0:1], -v[2:3]
	v_fma_f64 v[18:19], v[14:15], s[8:9], v[8:9]
	v_fma_f64 v[8:9], v[14:15], s[8:9], -v[8:9]
	;; [unrolled: 2-line block ×5, first 2 shown]
	v_add_f64_e32 v[14:15], v[228:229], v[210:211]
	v_add_f64_e32 v[16:17], v[64:65], v[16:17]
	;; [unrolled: 1-line block ×4, first 2 shown]
	v_mul_f64_e32 v[8:9], s[30:31], v[230:231]
	v_add_f64_e32 v[178:179], v[64:65], v[10:11]
	v_mul_f64_e32 v[10:11], s[8:9], v[234:235]
	v_add_f64_e32 v[200:201], v[64:65], v[12:13]
	;; [unrolled: 2-line block ×3, first 2 shown]
	v_mul_f64_e32 v[90:91], s[0:1], v[14:15]
	v_mul_f64_e32 v[92:93], s[8:9], v[14:15]
	v_mul_f64_e32 v[94:95], s[14:15], v[14:15]
	v_mul_f64_e32 v[96:97], s[12:13], v[14:15]
	v_mul_f64_e32 v[14:15], s[10:11], v[14:15]
	v_add_f64_e32 v[68:69], v[64:65], v[68:69]
	v_add_f64_e32 v[70:71], v[64:65], v[70:71]
	;; [unrolled: 1-line block ×3, first 2 shown]
	v_fma_f64 v[0:1], v[232:233], s[8:9], v[8:9]
	v_fma_f64 v[8:9], v[232:233], s[8:9], -v[8:9]
	s_wait_alu 0xfffe
	v_fma_f64 v[100:101], v[98:99], s[22:23], v[90:91]
	v_fma_f64 v[90:91], v[98:99], s[26:27], v[90:91]
	;; [unrolled: 1-line block ×10, first 2 shown]
	v_add_f64_e32 v[0:1], v[0:1], v[16:17]
	v_add_f64_e32 v[98:99], v[66:67], v[100:101]
	;; [unrolled: 1-line block ×3, first 2 shown]
	v_fma_f64 v[2:3], v[236:237], s[24:25], v[10:11]
	v_add_f64_e32 v[90:91], v[66:67], v[90:91]
	v_fma_f64 v[10:11], v[236:237], s[30:31], v[10:11]
	v_add_f64_e32 v[228:229], v[66:67], v[14:15]
	v_fma_f64 v[14:15], v[240:241], s[14:15], v[12:13]
	v_fma_f64 v[12:13], v[240:241], s[14:15], -v[12:13]
	v_add_f64_e32 v[102:103], v[66:67], v[102:103]
	v_add_f64_e32 v[92:93], v[66:67], v[92:93]
	;; [unrolled: 1-line block ×9, first 2 shown]
	v_mul_f64_e32 v[98:99], s[22:23], v[254:255]
	v_add_f64_e32 v[10:11], v[10:11], v[90:91]
	v_mul_f64_e32 v[90:91], s[14:15], v[250:251]
	v_add_f64_e32 v[0:1], v[14:15], v[0:1]
	v_mul_f64_e32 v[14:15], s[14:15], v[242:243]
	v_add_f64_e32 v[8:9], v[12:13], v[8:9]
	s_delay_alu instid0(VALU_DEP_2) | instskip(SKIP_2) | instid1(VALU_DEP_3)
	v_fma_f64 v[16:17], v[244:245], s[28:29], v[14:15]
	v_fma_f64 v[12:13], v[244:245], s[16:17], v[14:15]
	v_mul_f64_e32 v[14:15], s[12:13], v[234:235]
	v_add_f64_e32 v[2:3], v[16:17], v[2:3]
	v_mul_f64_e32 v[16:17], s[18:19], v[246:247]
	s_delay_alu instid0(VALU_DEP_4) | instskip(NEXT) | instid1(VALU_DEP_2)
	v_add_f64_e32 v[10:11], v[12:13], v[10:11]
	v_fma_f64 v[64:65], v[248:249], s[12:13], v[16:17]
	v_fma_f64 v[12:13], v[248:249], s[12:13], -v[16:17]
	v_fma_f64 v[16:17], v[236:237], s[36:37], v[14:15]
	v_fma_f64 v[14:15], v[236:237], s[18:19], v[14:15]
	s_delay_alu instid0(VALU_DEP_4)
	v_add_f64_e32 v[0:1], v[64:65], v[0:1]
	v_mul_f64_e32 v[64:65], s[12:13], v[250:251]
	v_add_f64_e32 v[8:9], v[12:13], v[8:9]
	v_add_f64_e32 v[16:17], v[16:17], v[102:103]
	;; [unrolled: 1-line block ×3, first 2 shown]
	v_mul_f64_e32 v[92:93], s[24:25], v[238:239]
	v_mul_f64_e32 v[102:103], s[0:1], v[250:251]
	v_fma_f64 v[66:67], v[252:253], s[36:37], v[64:65]
	v_fma_f64 v[12:13], v[252:253], s[18:19], v[64:65]
	v_mul_f64_e32 v[64:65], s[34:35], v[238:239]
	s_delay_alu instid0(VALU_DEP_3) | instskip(SKIP_3) | instid1(VALU_DEP_3)
	v_add_f64_e32 v[2:3], v[66:67], v[2:3]
	v_fma_f64 v[66:67], v[4:5], s[10:11], v[6:7]
	v_fma_f64 v[6:7], v[4:5], s[10:11], -v[6:7]
	v_add_f64_e32 v[10:11], v[12:13], v[10:11]
	v_add_f64_e32 v[0:1], v[66:67], v[0:1]
	v_mul_f64_e32 v[66:67], s[10:11], v[20:21]
	s_delay_alu instid0(VALU_DEP_4) | instskip(SKIP_1) | instid1(VALU_DEP_3)
	v_add_f64_e32 v[8:9], v[6:7], v[8:9]
	v_mul_f64_e32 v[6:7], s[18:19], v[230:231]
	v_fma_f64 v[12:13], v[22:23], s[20:21], v[66:67]
	v_fma_f64 v[88:89], v[22:23], s[34:35], v[66:67]
	v_mul_f64_e32 v[66:67], s[10:11], v[242:243]
	s_delay_alu instid0(VALU_DEP_3) | instskip(SKIP_4) | instid1(VALU_DEP_4)
	v_add_f64_e32 v[10:11], v[12:13], v[10:11]
	v_fma_f64 v[12:13], v[232:233], s[12:13], v[6:7]
	v_fma_f64 v[6:7], v[232:233], s[12:13], -v[6:7]
	v_add_f64_e32 v[2:3], v[88:89], v[2:3]
	v_mul_f64_e32 v[88:89], s[28:29], v[246:247]
	v_add_f64_e32 v[12:13], v[12:13], v[18:19]
	v_fma_f64 v[18:19], v[240:241], s[10:11], v[64:65]
	v_add_f64_e32 v[6:7], v[6:7], v[176:177]
	v_fma_f64 v[64:65], v[240:241], s[10:11], -v[64:65]
	s_delay_alu instid0(VALU_DEP_3) | instskip(SKIP_1) | instid1(VALU_DEP_3)
	v_add_f64_e32 v[12:13], v[18:19], v[12:13]
	v_fma_f64 v[18:19], v[244:245], s[20:21], v[66:67]
	v_add_f64_e32 v[6:7], v[64:65], v[6:7]
	v_fma_f64 v[64:65], v[244:245], s[34:35], v[66:67]
	s_delay_alu instid0(VALU_DEP_3) | instskip(SKIP_1) | instid1(VALU_DEP_3)
	v_add_f64_e32 v[16:17], v[18:19], v[16:17]
	v_fma_f64 v[18:19], v[248:249], s[14:15], v[88:89]
	v_add_f64_e32 v[14:15], v[64:65], v[14:15]
	v_fma_f64 v[64:65], v[248:249], s[14:15], -v[88:89]
	v_fma_f64 v[88:89], v[240:241], s[8:9], v[92:93]
	s_delay_alu instid0(VALU_DEP_4) | instskip(SKIP_1) | instid1(VALU_DEP_4)
	v_add_f64_e32 v[12:13], v[18:19], v[12:13]
	v_fma_f64 v[18:19], v[252:253], s[16:17], v[90:91]
	v_add_f64_e32 v[6:7], v[64:65], v[6:7]
	v_fma_f64 v[64:65], v[252:253], s[28:29], v[90:91]
	s_delay_alu instid0(VALU_DEP_3) | instskip(SKIP_1) | instid1(VALU_DEP_3)
	v_add_f64_e32 v[18:19], v[18:19], v[16:17]
	v_fma_f64 v[16:17], v[4:5], s[0:1], v[98:99]
	v_add_f64_e32 v[14:15], v[64:65], v[14:15]
	v_fma_f64 v[64:65], v[4:5], s[0:1], -v[98:99]
	v_mul_f64_e32 v[98:99], s[8:9], v[242:243]
	s_delay_alu instid0(VALU_DEP_4) | instskip(SKIP_1) | instid1(VALU_DEP_1)
	v_add_f64_e32 v[16:17], v[16:17], v[12:13]
	v_mul_f64_e32 v[12:13], s[0:1], v[20:21]
	v_fma_f64 v[100:101], v[22:23], s[26:27], v[12:13]
	v_fma_f64 v[66:67], v[22:23], s[22:23], v[12:13]
	v_add_f64_e32 v[12:13], v[64:65], v[6:7]
	v_mul_f64_e32 v[6:7], s[34:35], v[230:231]
	s_delay_alu instid0(VALU_DEP_4) | instskip(NEXT) | instid1(VALU_DEP_4)
	v_add_f64_e32 v[18:19], v[100:101], v[18:19]
	v_add_f64_e32 v[14:15], v[66:67], v[14:15]
	v_mul_f64_e32 v[66:67], s[10:11], v[234:235]
	s_delay_alu instid0(VALU_DEP_4) | instskip(SKIP_2) | instid1(VALU_DEP_3)
	v_fma_f64 v[64:65], v[232:233], s[10:11], v[6:7]
	v_mul_f64_e32 v[100:101], s[26:27], v[246:247]
	v_fma_f64 v[6:7], v[232:233], s[10:11], -v[6:7]
	v_add_f64_e32 v[64:65], v[64:65], v[68:69]
	v_fma_f64 v[68:69], v[236:237], s[20:21], v[66:67]
	s_delay_alu instid0(VALU_DEP_3) | instskip(SKIP_1) | instid1(VALU_DEP_4)
	v_add_f64_e32 v[6:7], v[6:7], v[178:179]
	v_fma_f64 v[66:67], v[236:237], s[34:35], v[66:67]
	v_add_f64_e32 v[64:65], v[88:89], v[64:65]
	s_delay_alu instid0(VALU_DEP_4) | instskip(SKIP_3) | instid1(VALU_DEP_3)
	v_add_f64_e32 v[68:69], v[68:69], v[104:105]
	v_fma_f64 v[88:89], v[244:245], s[30:31], v[98:99]
	v_mul_f64_e32 v[104:105], s[18:19], v[254:255]
	v_add_f64_e32 v[66:67], v[66:67], v[94:95]
	v_add_f64_e32 v[68:69], v[88:89], v[68:69]
	v_fma_f64 v[88:89], v[248:249], s[0:1], v[100:101]
	s_delay_alu instid0(VALU_DEP_1) | instskip(SKIP_1) | instid1(VALU_DEP_1)
	v_add_f64_e32 v[64:65], v[88:89], v[64:65]
	v_fma_f64 v[88:89], v[252:253], s[22:23], v[102:103]
	v_add_f64_e32 v[68:69], v[88:89], v[68:69]
	v_fma_f64 v[88:89], v[4:5], s[12:13], v[104:105]
	s_delay_alu instid0(VALU_DEP_1) | instskip(SKIP_1) | instid1(VALU_DEP_1)
	v_add_f64_e32 v[88:89], v[88:89], v[64:65]
	v_mul_f64_e32 v[64:65], s[12:13], v[20:21]
	v_fma_f64 v[90:91], v[22:23], s[36:37], v[64:65]
	s_delay_alu instid0(VALU_DEP_1) | instskip(SKIP_2) | instid1(VALU_DEP_2)
	v_add_f64_e32 v[90:91], v[90:91], v[68:69]
	v_fma_f64 v[68:69], v[240:241], s[8:9], -v[92:93]
	v_fma_f64 v[92:93], v[22:23], s[18:19], v[64:65]
	v_add_f64_e32 v[6:7], v[68:69], v[6:7]
	v_fma_f64 v[68:69], v[244:245], s[24:25], v[98:99]
	v_mul_f64_e32 v[98:99], s[26:27], v[238:239]
	s_delay_alu instid0(VALU_DEP_2) | instskip(SKIP_1) | instid1(VALU_DEP_3)
	v_add_f64_e32 v[66:67], v[68:69], v[66:67]
	v_fma_f64 v[68:69], v[248:249], s[0:1], -v[100:101]
	v_fma_f64 v[94:95], v[240:241], s[0:1], v[98:99]
	v_mul_f64_e32 v[100:101], s[0:1], v[242:243]
	s_delay_alu instid0(VALU_DEP_3) | instskip(SKIP_2) | instid1(VALU_DEP_2)
	v_add_f64_e32 v[6:7], v[68:69], v[6:7]
	v_fma_f64 v[68:69], v[252:253], s[26:27], v[102:103]
	v_mul_f64_e32 v[102:103], s[20:21], v[246:247]
	v_add_f64_e32 v[66:67], v[68:69], v[66:67]
	v_fma_f64 v[68:69], v[4:5], s[12:13], -v[104:105]
	v_mul_f64_e32 v[104:105], s[10:11], v[250:251]
	s_delay_alu instid0(VALU_DEP_3) | instskip(NEXT) | instid1(VALU_DEP_3)
	v_add_f64_e32 v[66:67], v[92:93], v[66:67]
	v_add_f64_e32 v[64:65], v[68:69], v[6:7]
	v_mul_f64_e32 v[6:7], s[28:29], v[230:231]
	s_delay_alu instid0(VALU_DEP_1) | instskip(SKIP_1) | instid1(VALU_DEP_2)
	v_fma_f64 v[68:69], v[232:233], s[14:15], v[6:7]
	v_fma_f64 v[6:7], v[232:233], s[14:15], -v[6:7]
	v_add_f64_e32 v[68:69], v[68:69], v[70:71]
	v_mul_f64_e32 v[70:71], s[14:15], v[234:235]
	s_delay_alu instid0(VALU_DEP_3) | instskip(NEXT) | instid1(VALU_DEP_3)
	v_add_f64_e32 v[6:7], v[6:7], v[200:201]
	v_add_f64_e32 v[68:69], v[94:95], v[68:69]
	s_delay_alu instid0(VALU_DEP_3) | instskip(SKIP_2) | instid1(VALU_DEP_3)
	v_fma_f64 v[92:93], v[236:237], s[16:17], v[70:71]
	v_fma_f64 v[70:71], v[236:237], s[28:29], v[70:71]
	;; [unrolled: 1-line block ×3, first 2 shown]
	v_add_f64_e32 v[92:93], v[92:93], v[106:107]
	s_delay_alu instid0(VALU_DEP_3) | instskip(SKIP_2) | instid1(VALU_DEP_4)
	v_add_f64_e32 v[70:71], v[70:71], v[96:97]
	v_fma_f64 v[96:97], v[240:241], s[0:1], -v[98:99]
	v_mul_f64_e32 v[106:107], s[24:25], v[254:255]
	v_add_f64_e32 v[92:93], v[94:95], v[92:93]
	v_fma_f64 v[94:95], v[248:249], s[10:11], v[102:103]
	s_delay_alu instid0(VALU_DEP_4) | instskip(SKIP_1) | instid1(VALU_DEP_3)
	v_add_f64_e32 v[6:7], v[96:97], v[6:7]
	v_fma_f64 v[96:97], v[244:245], s[26:27], v[100:101]
	v_add_f64_e32 v[68:69], v[94:95], v[68:69]
	v_fma_f64 v[94:95], v[252:253], s[34:35], v[104:105]
	s_delay_alu instid0(VALU_DEP_3) | instskip(SKIP_1) | instid1(VALU_DEP_3)
	v_add_f64_e32 v[70:71], v[96:97], v[70:71]
	v_fma_f64 v[96:97], v[248:249], s[10:11], -v[102:103]
	v_add_f64_e32 v[94:95], v[94:95], v[92:93]
	v_fma_f64 v[92:93], v[4:5], s[8:9], v[106:107]
	s_delay_alu instid0(VALU_DEP_3) | instskip(SKIP_1) | instid1(VALU_DEP_3)
	v_add_f64_e32 v[6:7], v[96:97], v[6:7]
	v_fma_f64 v[96:97], v[252:253], s[20:21], v[104:105]
	v_add_f64_e32 v[92:93], v[92:93], v[68:69]
	v_mul_f64_e32 v[68:69], s[8:9], v[20:21]
	s_delay_alu instid0(VALU_DEP_3) | instskip(SKIP_2) | instid1(VALU_DEP_4)
	v_add_f64_e32 v[70:71], v[96:97], v[70:71]
	v_fma_f64 v[96:97], v[4:5], s[8:9], -v[106:107]
	v_mul_f64_e32 v[20:21], s[14:15], v[20:21]
	v_fma_f64 v[176:177], v[22:23], s[30:31], v[68:69]
	v_fma_f64 v[68:69], v[22:23], s[24:25], v[68:69]
	s_delay_alu instid0(VALU_DEP_4)
	v_add_f64_e32 v[96:97], v[96:97], v[6:7]
	v_add_f64_e32 v[6:7], v[110:111], v[172:173]
	v_mul_f64_e32 v[110:111], s[12:13], v[242:243]
	v_add_f64_e32 v[94:95], v[176:177], v[94:95]
	v_add_f64_e32 v[98:99], v[68:69], v[70:71]
	;; [unrolled: 1-line block ×4, first 2 shown]
	v_mul_f64_e32 v[70:71], s[0:1], v[234:235]
	v_mul_f64_e32 v[130:131], s[24:25], v[246:247]
	s_delay_alu instid0(VALU_DEP_4) | instskip(NEXT) | instid1(VALU_DEP_4)
	v_add_f64_e32 v[68:69], v[68:69], v[186:187]
	v_add_f64_e32 v[6:7], v[6:7], v[188:189]
	s_delay_alu instid0(VALU_DEP_4) | instskip(NEXT) | instid1(VALU_DEP_3)
	v_fma_f64 v[100:101], v[236:237], s[26:27], v[70:71]
	v_add_f64_e32 v[68:69], v[68:69], v[168:169]
	s_delay_alu instid0(VALU_DEP_3) | instskip(NEXT) | instid1(VALU_DEP_3)
	v_add_f64_e32 v[6:7], v[6:7], v[170:171]
	v_add_f64_e32 v[100:101], v[100:101], v[108:109]
	v_mul_f64_e32 v[108:109], s[18:19], v[238:239]
	v_mul_f64_e32 v[168:169], s[16:17], v[254:255]
	v_add_f64_e32 v[68:69], v[68:69], v[180:181]
	v_add_f64_e32 v[6:7], v[6:7], v[182:183]
	s_delay_alu instid0(VALU_DEP_4) | instskip(NEXT) | instid1(VALU_DEP_3)
	v_fma_f64 v[102:103], v[240:241], s[12:13], v[108:109]
	v_add_f64_e32 v[68:69], v[68:69], v[190:191]
	s_delay_alu instid0(VALU_DEP_3) | instskip(NEXT) | instid1(VALU_DEP_2)
	v_add_f64_e32 v[6:7], v[6:7], v[192:193]
	v_add_f64_e32 v[68:69], v[68:69], v[166:167]
	s_delay_alu instid0(VALU_DEP_2) | instskip(SKIP_2) | instid1(VALU_DEP_4)
	v_add_f64_e32 v[6:7], v[6:7], v[196:197]
	v_mul_f64_e32 v[166:167], s[8:9], v[250:251]
	v_add_f64_e32 v[250:251], v[56:57], v[136:137]
	v_add_f64_e32 v[68:69], v[68:69], v[198:199]
	s_delay_alu instid0(VALU_DEP_4) | instskip(NEXT) | instid1(VALU_DEP_2)
	v_add_f64_e32 v[6:7], v[6:7], v[204:205]
	v_add_f64_e32 v[68:69], v[68:69], v[206:207]
	s_delay_alu instid0(VALU_DEP_2) | instskip(SKIP_1) | instid1(VALU_DEP_3)
	v_add_f64_e32 v[104:105], v[6:7], v[208:209]
	v_mul_f64_e32 v[6:7], s[22:23], v[230:231]
	v_add_f64_e32 v[106:107], v[68:69], v[210:211]
	s_delay_alu instid0(VALU_DEP_2) | instskip(SKIP_1) | instid1(VALU_DEP_2)
	v_fma_f64 v[68:69], v[232:233], s[0:1], v[6:7]
	v_fma_f64 v[6:7], v[232:233], s[0:1], -v[6:7]
	v_add_f64_e32 v[68:69], v[68:69], v[202:203]
	s_delay_alu instid0(VALU_DEP_2) | instskip(SKIP_1) | instid1(VALU_DEP_3)
	v_add_f64_e32 v[6:7], v[6:7], v[226:227]
	v_add_f64_e64 v[226:227], v[136:137], -v[74:75]
	v_add_f64_e32 v[68:69], v[102:103], v[68:69]
	v_fma_f64 v[102:103], v[244:245], s[36:37], v[110:111]
	s_delay_alu instid0(VALU_DEP_1) | instskip(SKIP_1) | instid1(VALU_DEP_1)
	v_add_f64_e32 v[100:101], v[102:103], v[100:101]
	v_fma_f64 v[102:103], v[248:249], s[8:9], v[130:131]
	v_add_f64_e32 v[68:69], v[102:103], v[68:69]
	v_fma_f64 v[102:103], v[252:253], s[30:31], v[166:167]
	s_delay_alu instid0(VALU_DEP_1) | instskip(SKIP_2) | instid1(VALU_DEP_2)
	v_add_f64_e32 v[102:103], v[102:103], v[100:101]
	v_fma_f64 v[100:101], v[4:5], s[14:15], v[168:169]
	v_fma_f64 v[4:5], v[4:5], s[14:15], -v[168:169]
	v_add_f64_e32 v[100:101], v[100:101], v[68:69]
	v_fma_f64 v[68:69], v[22:23], s[28:29], v[20:21]
	v_fma_f64 v[20:21], v[22:23], s[16:17], v[20:21]
	v_add_f64_e32 v[22:23], v[164:165], v[128:129]
	s_delay_alu instid0(VALU_DEP_3)
	v_add_f64_e32 v[102:103], v[68:69], v[102:103]
	v_fma_f64 v[68:69], v[236:237], s[22:23], v[70:71]
	v_fma_f64 v[70:71], v[240:241], s[12:13], -v[108:109]
	v_fma_f64 v[108:109], v[244:245], s[18:19], v[110:111]
	v_fma_f64 v[110:111], v[248:249], s[8:9], -v[130:131]
	v_fma_f64 v[130:131], v[252:253], s[24:25], v[166:167]
	v_mul_f64_e32 v[174:175], s[8:9], v[22:23]
	v_mul_f64_e32 v[180:181], s[12:13], v[22:23]
	;; [unrolled: 1-line block ×3, first 2 shown]
	v_add_f64_e32 v[252:253], v[58:59], v[138:139]
	v_add_f64_e32 v[68:69], v[68:69], v[228:229]
	;; [unrolled: 1-line block ×3, first 2 shown]
	s_delay_alu instid0(VALU_DEP_2) | instskip(NEXT) | instid1(VALU_DEP_2)
	v_add_f64_e32 v[68:69], v[108:109], v[68:69]
	v_add_f64_e32 v[6:7], v[110:111], v[6:7]
	s_delay_alu instid0(VALU_DEP_2) | instskip(NEXT) | instid1(VALU_DEP_2)
	v_add_f64_e32 v[68:69], v[130:131], v[68:69]
	v_add_f64_e32 v[108:109], v[4:5], v[6:7]
	;; [unrolled: 1-line block ×4, first 2 shown]
	s_delay_alu instid0(VALU_DEP_4) | instskip(SKIP_1) | instid1(VALU_DEP_4)
	v_add_f64_e32 v[110:111], v[20:21], v[68:69]
	v_add_f64_e64 v[20:21], v[164:165], -v[128:129]
	v_add_f64_e32 v[4:5], v[4:5], v[154:155]
	s_delay_alu instid0(VALU_DEP_4) | instskip(NEXT) | instid1(VALU_DEP_3)
	v_add_f64_e32 v[6:7], v[6:7], v[152:153]
	v_mul_f64_e32 v[68:69], s[26:27], v[20:21]
	s_delay_alu instid0(VALU_DEP_3) | instskip(NEXT) | instid1(VALU_DEP_3)
	v_add_f64_e32 v[4:5], v[4:5], v[160:161]
	v_add_f64_e32 v[6:7], v[6:7], v[156:157]
	v_mul_f64_e32 v[70:71], s[30:31], v[20:21]
	v_mul_f64_e32 v[164:165], s[18:19], v[20:21]
	s_delay_alu instid0(VALU_DEP_4) | instskip(NEXT) | instid1(VALU_DEP_4)
	v_add_f64_e32 v[4:5], v[4:5], v[158:159]
	v_add_f64_e32 v[6:7], v[6:7], v[146:147]
	s_delay_alu instid0(VALU_DEP_2) | instskip(NEXT) | instid1(VALU_DEP_2)
	v_add_f64_e32 v[4:5], v[4:5], v[144:145]
	v_add_f64_e32 v[6:7], v[6:7], v[140:141]
	s_delay_alu instid0(VALU_DEP_2) | instskip(NEXT) | instid1(VALU_DEP_2)
	;; [unrolled: 3-line block ×6, first 2 shown]
	v_add_f64_e32 v[130:131], v[4:5], v[128:129]
	v_add_f64_e32 v[128:129], v[6:7], v[224:225]
	v_add_f64_e64 v[6:7], v[162:163], -v[224:225]
	v_add_f64_e32 v[4:5], v[162:163], v[224:225]
	v_mul_f64_e32 v[162:163], s[16:17], v[20:21]
	v_mul_f64_e32 v[20:21], s[20:21], v[20:21]
	s_delay_alu instid0(VALU_DEP_4) | instskip(NEXT) | instid1(VALU_DEP_4)
	v_fma_f64 v[184:185], v[6:7], s[24:25], v[174:175]
	v_fma_f64 v[166:167], v[4:5], s[0:1], v[68:69]
	v_fma_f64 v[68:69], v[4:5], s[0:1], -v[68:69]
	v_fma_f64 v[168:169], v[4:5], s[8:9], v[70:71]
	v_fma_f64 v[70:71], v[4:5], s[8:9], -v[70:71]
	;; [unrolled: 2-line block ×5, first 2 shown]
	v_mul_f64_e32 v[20:21], s[0:1], v[22:23]
	v_mul_f64_e32 v[22:23], s[10:11], v[22:23]
	v_fma_f64 v[196:197], v[6:7], s[36:37], v[180:181]
	v_fma_f64 v[180:181], v[6:7], s[18:19], v[180:181]
	;; [unrolled: 1-line block ×5, first 2 shown]
	v_add_f64_e32 v[230:231], v[62:63], v[184:185]
	v_add_f64_e64 v[184:185], v[154:155], -v[218:219]
	v_add_f64_e32 v[210:211], v[60:61], v[68:69]
	v_add_f64_e32 v[240:241], v[60:61], v[168:169]
	;; [unrolled: 1-line block ×9, first 2 shown]
	v_fma_f64 v[182:183], v[6:7], s[22:23], v[20:21]
	v_fma_f64 v[20:21], v[6:7], s[26:27], v[20:21]
	;; [unrolled: 1-line block ×4, first 2 shown]
	v_add_f64_e32 v[170:171], v[62:63], v[180:181]
	v_add_f64_e32 v[180:181], v[154:155], v[218:219]
	;; [unrolled: 1-line block ×9, first 2 shown]
	v_add_f64_e64 v[152:153], v[152:153], -v[216:217]
	v_add_f64_e64 v[196:197], v[158:159], -v[194:195]
	v_add_f64_e32 v[158:159], v[158:159], v[194:195]
	v_add_f64_e32 v[194:195], v[146:147], v[150:151]
	v_add_f64_e64 v[146:147], v[146:147], -v[150:151]
	v_add_f64_e64 v[150:151], v[144:145], -v[148:149]
	v_add_f64_e32 v[144:145], v[144:145], v[148:149]
	v_add_f64_e32 v[148:149], v[140:141], v[142:143]
	v_add_f64_e64 v[140:141], v[140:141], -v[142:143]
	v_mul_f64_e32 v[4:5], s[30:31], v[184:185]
	v_mul_f64_e32 v[176:177], s[14:15], v[172:173]
	v_add_f64_e32 v[202:203], v[62:63], v[182:183]
	v_add_f64_e64 v[182:183], v[160:161], -v[214:215]
	v_add_f64_e32 v[20:21], v[62:63], v[20:21]
	v_add_f64_e32 v[164:165], v[62:63], v[6:7]
	;; [unrolled: 1-line block ×4, first 2 shown]
	v_add_f64_e64 v[156:157], v[156:157], -v[212:213]
	v_mul_f64_e32 v[142:143], s[18:19], v[196:197]
	v_mul_f64_e32 v[178:179], s[12:13], v[158:159]
	;; [unrolled: 1-line block ×3, first 2 shown]
	v_fma_f64 v[6:7], v[154:155], s[8:9], v[4:5]
	v_fma_f64 v[4:5], v[154:155], s[8:9], -v[4:5]
	v_mul_f64_e32 v[62:63], s[16:17], v[182:183]
	s_delay_alu instid0(VALU_DEP_3) | instskip(SKIP_1) | instid1(VALU_DEP_4)
	v_add_f64_e32 v[6:7], v[6:7], v[22:23]
	v_mul_f64_e32 v[22:23], s[8:9], v[180:181]
	v_add_f64_e32 v[4:5], v[4:5], v[210:211]
	s_delay_alu instid0(VALU_DEP_4) | instskip(NEXT) | instid1(VALU_DEP_3)
	v_fma_f64 v[68:69], v[160:161], s[14:15], v[62:63]
	v_fma_f64 v[60:61], v[152:153], s[24:25], v[22:23]
	;; [unrolled: 1-line block ×3, first 2 shown]
	s_delay_alu instid0(VALU_DEP_3) | instskip(SKIP_1) | instid1(VALU_DEP_4)
	v_add_f64_e32 v[6:7], v[68:69], v[6:7]
	v_fma_f64 v[68:69], v[156:157], s[28:29], v[176:177]
	v_add_f64_e32 v[60:61], v[60:61], v[202:203]
	s_delay_alu instid0(VALU_DEP_4) | instskip(SKIP_1) | instid1(VALU_DEP_3)
	v_add_f64_e32 v[20:21], v[22:23], v[20:21]
	v_fma_f64 v[22:23], v[160:161], s[14:15], -v[62:63]
	v_add_f64_e32 v[60:61], v[68:69], v[60:61]
	v_fma_f64 v[68:69], v[194:195], s[12:13], v[142:143]
	s_delay_alu instid0(VALU_DEP_3) | instskip(SKIP_2) | instid1(VALU_DEP_4)
	v_add_f64_e32 v[4:5], v[22:23], v[4:5]
	v_fma_f64 v[22:23], v[156:157], s[16:17], v[176:177]
	v_add_f64_e32 v[176:177], v[136:137], v[74:75]
	v_add_f64_e32 v[6:7], v[68:69], v[6:7]
	v_fma_f64 v[68:69], v[146:147], s[36:37], v[178:179]
	s_delay_alu instid0(VALU_DEP_4) | instskip(SKIP_1) | instid1(VALU_DEP_3)
	v_add_f64_e32 v[20:21], v[22:23], v[20:21]
	v_fma_f64 v[22:23], v[194:195], s[12:13], -v[142:143]
	v_add_f64_e32 v[60:61], v[68:69], v[60:61]
	v_fma_f64 v[68:69], v[148:149], s[10:11], v[200:201]
	s_delay_alu instid0(VALU_DEP_3) | instskip(SKIP_1) | instid1(VALU_DEP_3)
	v_add_f64_e32 v[4:5], v[22:23], v[4:5]
	v_fma_f64 v[22:23], v[146:147], s[18:19], v[178:179]
	v_add_f64_e32 v[68:69], v[68:69], v[6:7]
	v_mul_f64_e32 v[6:7], s[10:11], v[144:145]
	s_delay_alu instid0(VALU_DEP_3) | instskip(SKIP_1) | instid1(VALU_DEP_3)
	v_add_f64_e32 v[20:21], v[22:23], v[20:21]
	v_fma_f64 v[22:23], v[148:149], s[10:11], -v[200:201]
	v_fma_f64 v[70:71], v[140:141], s[34:35], v[6:7]
	v_fma_f64 v[6:7], v[140:141], s[20:21], v[6:7]
	s_delay_alu instid0(VALU_DEP_2) | instskip(NEXT) | instid1(VALU_DEP_4)
	v_add_f64_e32 v[70:71], v[70:71], v[60:61]
	v_add_f64_e32 v[60:61], v[22:23], v[4:5]
	v_add_f64_e64 v[4:5], v[138:139], -v[134:135]
	s_delay_alu instid0(VALU_DEP_4) | instskip(NEXT) | instid1(VALU_DEP_2)
	v_add_f64_e32 v[62:63], v[6:7], v[20:21]
	v_mul_f64_e32 v[142:143], s[18:19], v[4:5]
	v_mul_f64_e32 v[6:7], s[26:27], v[4:5]
	;; [unrolled: 1-line block ×5, first 2 shown]
	v_fma_f64 v[216:217], v[176:177], s[12:13], v[142:143]
	v_fma_f64 v[218:219], v[176:177], s[12:13], -v[142:143]
	v_add_f64_e32 v[142:143], v[138:139], v[134:135]
	v_fma_f64 v[178:179], v[176:177], s[0:1], v[6:7]
	v_fma_f64 v[6:7], v[176:177], s[0:1], -v[6:7]
	v_fma_f64 v[200:201], v[176:177], s[8:9], v[20:21]
	v_fma_f64 v[20:21], v[176:177], s[8:9], -v[20:21]
	;; [unrolled: 2-line block ×4, first 2 shown]
	v_add_f64_e32 v[244:245], v[56:57], v[216:217]
	v_add_f64_e32 v[218:219], v[56:57], v[218:219]
	v_mul_f64_e32 v[176:177], s[0:1], v[142:143]
	v_mul_f64_e32 v[202:203], s[8:9], v[142:143]
	;; [unrolled: 1-line block ×4, first 2 shown]
	v_add_f64_e32 v[136:137], v[56:57], v[6:7]
	v_add_f64_e32 v[248:249], v[56:57], v[212:213]
	v_mul_f64_e32 v[142:143], s[10:11], v[142:143]
	v_add_f64_e32 v[200:201], v[56:57], v[200:201]
	v_fma_f64 v[228:229], v[226:227], s[22:23], v[176:177]
	v_fma_f64 v[234:235], v[226:227], s[24:25], v[202:203]
	;; [unrolled: 1-line block ×7, first 2 shown]
	v_add_f64_e32 v[210:211], v[56:57], v[20:21]
	v_mul_f64_e32 v[20:21], s[12:13], v[180:181]
	v_fma_f64 v[28:29], v[226:227], s[34:35], v[142:143]
	v_add_f64_e32 v[214:215], v[56:57], v[22:23]
	v_fma_f64 v[232:233], v[226:227], s[26:27], v[176:177]
	v_fma_f64 v[30:31], v[226:227], s[20:21], v[142:143]
	v_add_f64_e32 v[176:177], v[56:57], v[178:179]
	v_add_f64_e32 v[202:203], v[58:59], v[228:229]
	;; [unrolled: 1-line block ×4, first 2 shown]
	v_mul_f64_e32 v[4:5], s[18:19], v[184:185]
	v_add_f64_e32 v[212:213], v[58:59], v[242:243]
	v_add_f64_e32 v[242:243], v[58:59], v[24:25]
	v_mul_f64_e32 v[24:25], s[34:35], v[182:183]
	v_add_f64_e32 v[216:217], v[58:59], v[26:27]
	v_fma_f64 v[22:23], v[152:153], s[36:37], v[20:21]
	v_add_f64_e32 v[226:227], v[58:59], v[28:29]
	v_add_f64_e32 v[254:255], v[58:59], v[234:235]
	;; [unrolled: 1-line block ×6, first 2 shown]
	v_fma_f64 v[20:21], v[152:153], s[18:19], v[20:21]
	v_fma_f64 v[6:7], v[154:155], s[12:13], v[4:5]
	v_fma_f64 v[4:5], v[154:155], s[12:13], -v[4:5]
	v_fma_f64 v[26:27], v[160:161], s[10:11], v[24:25]
	v_add_f64_e32 v[22:23], v[22:23], v[230:231]
	v_add_f64_e32 v[20:21], v[20:21], v[206:207]
	;; [unrolled: 1-line block ×4, first 2 shown]
	s_delay_alu instid0(VALU_DEP_2) | instskip(SKIP_1) | instid1(VALU_DEP_1)
	v_add_f64_e32 v[6:7], v[26:27], v[6:7]
	v_mul_f64_e32 v[26:27], s[10:11], v[172:173]
	v_fma_f64 v[28:29], v[156:157], s[20:21], v[26:27]
	s_delay_alu instid0(VALU_DEP_1) | instskip(SKIP_1) | instid1(VALU_DEP_1)
	v_add_f64_e32 v[22:23], v[28:29], v[22:23]
	v_mul_f64_e32 v[28:29], s[28:29], v[196:197]
	v_fma_f64 v[30:31], v[194:195], s[14:15], v[28:29]
	s_delay_alu instid0(VALU_DEP_1) | instskip(SKIP_1) | instid1(VALU_DEP_1)
	;; [unrolled: 4-line block ×4, first 2 shown]
	v_add_f64_e32 v[230:231], v[178:179], v[6:7]
	v_mul_f64_e32 v[6:7], s[0:1], v[144:145]
	v_fma_f64 v[178:179], v[140:141], s[26:27], v[6:7]
	v_fma_f64 v[6:7], v[140:141], s[22:23], v[6:7]
	s_delay_alu instid0(VALU_DEP_2) | instskip(SKIP_2) | instid1(VALU_DEP_2)
	v_add_f64_e32 v[232:233], v[178:179], v[22:23]
	v_fma_f64 v[22:23], v[160:161], s[10:11], -v[24:25]
	v_mul_f64_e32 v[24:25], s[24:25], v[182:183]
	v_add_f64_e32 v[4:5], v[22:23], v[4:5]
	v_fma_f64 v[22:23], v[156:157], s[34:35], v[26:27]
	s_delay_alu instid0(VALU_DEP_3) | instskip(NEXT) | instid1(VALU_DEP_2)
	v_fma_f64 v[26:27], v[160:161], s[8:9], v[24:25]
	v_add_f64_e32 v[20:21], v[22:23], v[20:21]
	v_fma_f64 v[22:23], v[194:195], s[14:15], -v[28:29]
	s_delay_alu instid0(VALU_DEP_1) | instskip(SKIP_1) | instid1(VALU_DEP_1)
	v_add_f64_e32 v[4:5], v[22:23], v[4:5]
	v_fma_f64 v[22:23], v[146:147], s[28:29], v[30:31]
	v_add_f64_e32 v[20:21], v[22:23], v[20:21]
	v_fma_f64 v[22:23], v[148:149], s[0:1], -v[58:59]
	s_delay_alu instid0(VALU_DEP_2) | instskip(NEXT) | instid1(VALU_DEP_2)
	v_add_f64_e32 v[208:209], v[6:7], v[20:21]
	v_add_f64_e32 v[206:207], v[22:23], v[4:5]
	v_mul_f64_e32 v[4:5], s[34:35], v[184:185]
	v_mul_f64_e32 v[20:21], s[10:11], v[180:181]
	s_delay_alu instid0(VALU_DEP_2) | instskip(NEXT) | instid1(VALU_DEP_2)
	v_fma_f64 v[6:7], v[154:155], s[10:11], v[4:5]
	v_fma_f64 v[22:23], v[152:153], s[20:21], v[20:21]
	v_fma_f64 v[4:5], v[154:155], s[10:11], -v[4:5]
	v_fma_f64 v[20:21], v[152:153], s[34:35], v[20:21]
	s_delay_alu instid0(VALU_DEP_4) | instskip(NEXT) | instid1(VALU_DEP_4)
	v_add_f64_e32 v[6:7], v[6:7], v[204:205]
	v_add_f64_e32 v[22:23], v[22:23], v[198:199]
	s_delay_alu instid0(VALU_DEP_4) | instskip(NEXT) | instid1(VALU_DEP_4)
	v_add_f64_e32 v[4:5], v[4:5], v[192:193]
	v_add_f64_e32 v[20:21], v[20:21], v[190:191]
	s_delay_alu instid0(VALU_DEP_4) | instskip(SKIP_1) | instid1(VALU_DEP_1)
	v_add_f64_e32 v[6:7], v[26:27], v[6:7]
	v_mul_f64_e32 v[26:27], s[8:9], v[172:173]
	v_fma_f64 v[28:29], v[156:157], s[30:31], v[26:27]
	s_delay_alu instid0(VALU_DEP_1) | instskip(SKIP_1) | instid1(VALU_DEP_1)
	v_add_f64_e32 v[22:23], v[28:29], v[22:23]
	v_mul_f64_e32 v[28:29], s[26:27], v[196:197]
	v_fma_f64 v[30:31], v[194:195], s[0:1], v[28:29]
	s_delay_alu instid0(VALU_DEP_1) | instskip(SKIP_1) | instid1(VALU_DEP_1)
	v_add_f64_e32 v[6:7], v[30:31], v[6:7]
	v_mul_f64_e32 v[30:31], s[0:1], v[158:159]
	v_fma_f64 v[58:59], v[146:147], s[22:23], v[30:31]
	s_delay_alu instid0(VALU_DEP_1) | instskip(SKIP_1) | instid1(VALU_DEP_1)
	v_add_f64_e32 v[22:23], v[58:59], v[22:23]
	v_mul_f64_e32 v[58:59], s[18:19], v[150:151]
	v_fma_f64 v[178:179], v[148:149], s[12:13], v[58:59]
	s_delay_alu instid0(VALU_DEP_1) | instskip(SKIP_1) | instid1(VALU_DEP_1)
	v_add_f64_e32 v[234:235], v[178:179], v[6:7]
	v_mul_f64_e32 v[6:7], s[12:13], v[144:145]
	v_fma_f64 v[178:179], v[140:141], s[36:37], v[6:7]
	v_fma_f64 v[6:7], v[140:141], s[18:19], v[6:7]
	s_delay_alu instid0(VALU_DEP_2) | instskip(SKIP_2) | instid1(VALU_DEP_2)
	v_add_f64_e32 v[236:237], v[178:179], v[22:23]
	v_fma_f64 v[22:23], v[160:161], s[8:9], -v[24:25]
	v_mul_f64_e32 v[24:25], s[26:27], v[182:183]
	v_add_f64_e32 v[4:5], v[22:23], v[4:5]
	v_fma_f64 v[22:23], v[156:157], s[24:25], v[26:27]
	s_delay_alu instid0(VALU_DEP_3) | instskip(NEXT) | instid1(VALU_DEP_2)
	v_fma_f64 v[26:27], v[160:161], s[0:1], v[24:25]
	v_add_f64_e32 v[20:21], v[22:23], v[20:21]
	v_fma_f64 v[22:23], v[194:195], s[0:1], -v[28:29]
	s_delay_alu instid0(VALU_DEP_1) | instskip(SKIP_1) | instid1(VALU_DEP_1)
	v_add_f64_e32 v[4:5], v[22:23], v[4:5]
	v_fma_f64 v[22:23], v[146:147], s[26:27], v[30:31]
	v_add_f64_e32 v[20:21], v[22:23], v[20:21]
	v_fma_f64 v[22:23], v[148:149], s[12:13], -v[58:59]
	s_delay_alu instid0(VALU_DEP_2) | instskip(NEXT) | instid1(VALU_DEP_2)
	v_add_f64_e32 v[192:193], v[6:7], v[20:21]
	v_add_f64_e32 v[190:191], v[22:23], v[4:5]
	v_mul_f64_e32 v[4:5], s[28:29], v[184:185]
	v_mul_f64_e32 v[20:21], s[14:15], v[180:181]
	s_delay_alu instid0(VALU_DEP_2) | instskip(NEXT) | instid1(VALU_DEP_2)
	v_fma_f64 v[6:7], v[154:155], s[14:15], v[4:5]
	v_fma_f64 v[22:23], v[152:153], s[16:17], v[20:21]
	v_fma_f64 v[4:5], v[154:155], s[14:15], -v[4:5]
	v_fma_f64 v[20:21], v[152:153], s[28:29], v[20:21]
	s_delay_alu instid0(VALU_DEP_4) | instskip(NEXT) | instid1(VALU_DEP_4)
	v_add_f64_e32 v[6:7], v[6:7], v[188:189]
	v_add_f64_e32 v[22:23], v[22:23], v[186:187]
	s_delay_alu instid0(VALU_DEP_4) | instskip(NEXT) | instid1(VALU_DEP_4)
	v_add_f64_e32 v[4:5], v[4:5], v[174:175]
	v_add_f64_e32 v[20:21], v[20:21], v[170:171]
	s_delay_alu instid0(VALU_DEP_4) | instskip(SKIP_1) | instid1(VALU_DEP_1)
	v_add_f64_e32 v[6:7], v[26:27], v[6:7]
	v_mul_f64_e32 v[26:27], s[0:1], v[172:173]
	v_fma_f64 v[28:29], v[156:157], s[22:23], v[26:27]
	s_delay_alu instid0(VALU_DEP_1) | instskip(SKIP_1) | instid1(VALU_DEP_1)
	v_add_f64_e32 v[22:23], v[28:29], v[22:23]
	v_mul_f64_e32 v[28:29], s[20:21], v[196:197]
	v_fma_f64 v[30:31], v[194:195], s[10:11], v[28:29]
	s_delay_alu instid0(VALU_DEP_1) | instskip(SKIP_1) | instid1(VALU_DEP_1)
	;; [unrolled: 4-line block ×3, first 2 shown]
	v_add_f64_e32 v[22:23], v[58:59], v[22:23]
	v_mul_f64_e32 v[58:59], s[24:25], v[150:151]
	v_fma_f64 v[178:179], v[148:149], s[8:9], v[58:59]
	s_delay_alu instid0(VALU_DEP_1) | instskip(SKIP_2) | instid1(VALU_DEP_2)
	v_add_f64_e32 v[186:187], v[178:179], v[6:7]
	v_mul_f64_e32 v[6:7], s[8:9], v[144:145]
	v_mul_f64_e32 v[144:145], s[14:15], v[144:145]
	v_fma_f64 v[178:179], v[140:141], s[30:31], v[6:7]
	v_fma_f64 v[6:7], v[140:141], s[24:25], v[6:7]
	s_delay_alu instid0(VALU_DEP_2) | instskip(SKIP_2) | instid1(VALU_DEP_2)
	v_add_f64_e32 v[188:189], v[178:179], v[22:23]
	v_fma_f64 v[22:23], v[160:161], s[0:1], -v[24:25]
	v_mul_f64_e32 v[24:25], s[18:19], v[182:183]
	v_add_f64_e32 v[4:5], v[22:23], v[4:5]
	v_fma_f64 v[22:23], v[156:157], s[26:27], v[26:27]
	s_delay_alu instid0(VALU_DEP_3) | instskip(NEXT) | instid1(VALU_DEP_2)
	v_fma_f64 v[26:27], v[160:161], s[12:13], v[24:25]
	v_add_f64_e32 v[20:21], v[22:23], v[20:21]
	v_fma_f64 v[22:23], v[194:195], s[10:11], -v[28:29]
	s_delay_alu instid0(VALU_DEP_1) | instskip(SKIP_1) | instid1(VALU_DEP_1)
	v_add_f64_e32 v[4:5], v[22:23], v[4:5]
	v_fma_f64 v[22:23], v[146:147], s[20:21], v[30:31]
	v_add_f64_e32 v[20:21], v[22:23], v[20:21]
	v_fma_f64 v[22:23], v[148:149], s[8:9], -v[58:59]
	s_delay_alu instid0(VALU_DEP_2) | instskip(NEXT) | instid1(VALU_DEP_2)
	v_add_f64_e32 v[240:241], v[6:7], v[20:21]
	v_add_f64_e32 v[238:239], v[22:23], v[4:5]
	v_mul_f64_e32 v[4:5], s[22:23], v[184:185]
	v_mul_f64_e32 v[20:21], s[0:1], v[180:181]
	s_delay_alu instid0(VALU_DEP_2) | instskip(NEXT) | instid1(VALU_DEP_2)
	v_fma_f64 v[6:7], v[154:155], s[0:1], v[4:5]
	v_fma_f64 v[22:23], v[152:153], s[26:27], v[20:21]
	v_fma_f64 v[4:5], v[154:155], s[0:1], -v[4:5]
	s_delay_alu instid0(VALU_DEP_3) | instskip(NEXT) | instid1(VALU_DEP_3)
	v_add_f64_e32 v[6:7], v[6:7], v[168:169]
	v_add_f64_e32 v[22:23], v[22:23], v[166:167]
	s_delay_alu instid0(VALU_DEP_3) | instskip(NEXT) | instid1(VALU_DEP_3)
	v_add_f64_e32 v[4:5], v[4:5], v[162:163]
	v_add_f64_e32 v[6:7], v[26:27], v[6:7]
	v_mul_f64_e32 v[26:27], s[12:13], v[172:173]
	s_delay_alu instid0(VALU_DEP_1) | instskip(NEXT) | instid1(VALU_DEP_1)
	v_fma_f64 v[28:29], v[156:157], s[36:37], v[26:27]
	v_add_f64_e32 v[22:23], v[28:29], v[22:23]
	v_mul_f64_e32 v[28:29], s[24:25], v[196:197]
	s_delay_alu instid0(VALU_DEP_1) | instskip(NEXT) | instid1(VALU_DEP_1)
	v_fma_f64 v[30:31], v[194:195], s[8:9], v[28:29]
	v_add_f64_e32 v[6:7], v[30:31], v[6:7]
	v_mul_f64_e32 v[30:31], s[8:9], v[158:159]
	v_add_f64_e32 v[158:159], v[112:113], v[116:117]
	s_delay_alu instid0(VALU_DEP_2) | instskip(NEXT) | instid1(VALU_DEP_1)
	v_fma_f64 v[58:59], v[146:147], s[30:31], v[30:31]
	v_add_f64_e32 v[22:23], v[58:59], v[22:23]
	v_mul_f64_e32 v[58:59], s[16:17], v[150:151]
	s_delay_alu instid0(VALU_DEP_1) | instskip(NEXT) | instid1(VALU_DEP_1)
	v_fma_f64 v[150:151], v[148:149], s[14:15], v[58:59]
	v_add_f64_e32 v[166:167], v[150:151], v[6:7]
	v_fma_f64 v[6:7], v[140:141], s[28:29], v[144:145]
	s_delay_alu instid0(VALU_DEP_1)
	v_add_f64_e32 v[168:169], v[6:7], v[22:23]
	v_fma_f64 v[6:7], v[152:153], s[22:23], v[20:21]
	v_fma_f64 v[20:21], v[160:161], s[12:13], -v[24:25]
	v_fma_f64 v[22:23], v[156:157], s[18:19], v[26:27]
	v_add_f64_e64 v[24:25], v[132:133], -v[76:77]
	v_add_f64_e32 v[26:27], v[132:133], v[76:77]
	v_add_f64_e64 v[152:153], v[118:119], -v[86:87]
	v_add_f64_e64 v[160:161], v[112:113], -v[116:117]
	v_add_f64_e32 v[6:7], v[6:7], v[164:165]
	v_add_f64_e32 v[4:5], v[20:21], v[4:5]
	v_fma_f64 v[20:21], v[194:195], s[8:9], -v[28:29]
	v_add_f64_e32 v[28:29], v[124:125], v[82:83]
	v_mul_f64_e32 v[154:155], s[16:17], v[24:25]
	v_mul_f64_e32 v[156:157], s[14:15], v[26:27]
	;; [unrolled: 1-line block ×4, first 2 shown]
	v_add_f64_e32 v[6:7], v[22:23], v[6:7]
	v_fma_f64 v[22:23], v[146:147], s[24:25], v[30:31]
	v_add_f64_e32 v[4:5], v[20:21], v[4:5]
	v_fma_f64 v[20:21], v[148:149], s[14:15], -v[58:59]
	v_add_f64_e64 v[30:31], v[124:125], -v[82:83]
	s_delay_alu instid0(VALU_DEP_4) | instskip(SKIP_1) | instid1(VALU_DEP_4)
	v_add_f64_e32 v[6:7], v[22:23], v[6:7]
	v_fma_f64 v[22:23], v[140:141], s[16:17], v[144:145]
	v_add_f64_e32 v[144:145], v[20:21], v[4:5]
	v_add_f64_e32 v[4:5], v[250:251], v[122:123]
	;; [unrolled: 1-line block ×4, first 2 shown]
	v_mul_f64_e32 v[250:251], s[0:1], v[26:27]
	v_add_f64_e32 v[146:147], v[22:23], v[6:7]
	v_add_f64_e32 v[6:7], v[252:253], v[126:127]
	;; [unrolled: 1-line block ×3, first 2 shown]
	v_add_f64_e64 v[22:23], v[122:123], -v[78:79]
	v_add_f64_e64 v[122:123], v[120:121], -v[80:81]
	s_delay_alu instid0(VALU_DEP_4) | instskip(NEXT) | instid1(VALU_DEP_4)
	v_add_f64_e32 v[6:7], v[6:7], v[132:133]
	v_add_f64_e32 v[4:5], v[4:5], v[118:119]
	v_add_f64_e64 v[118:119], v[114:115], -v[84:85]
	s_delay_alu instid0(VALU_DEP_4)
	v_mul_f64_e32 v[162:163], s[18:19], v[122:123]
	v_mul_f64_e32 v[178:179], s[28:29], v[122:123]
	;; [unrolled: 1-line block ×3, first 2 shown]
	v_add_f64_e32 v[6:7], v[6:7], v[120:121]
	v_add_f64_e32 v[4:5], v[4:5], v[112:113]
	;; [unrolled: 1-line block ×3, first 2 shown]
	v_mul_f64_e32 v[170:171], s[20:21], v[118:119]
	v_mul_f64_e32 v[182:183], s[22:23], v[118:119]
	;; [unrolled: 1-line block ×3, first 2 shown]
	v_add_f64_e32 v[6:7], v[6:7], v[114:115]
	v_add_f64_e32 v[4:5], v[4:5], v[116:117]
	v_mul_f64_e32 v[164:165], s[12:13], v[120:121]
	v_add_f64_e32 v[114:115], v[114:115], v[84:85]
	v_mul_f64_e32 v[180:181], s[14:15], v[120:121]
	v_mul_f64_e32 v[204:205], s[0:1], v[120:121]
	v_fma_f64 v[34:35], v[158:159], s[8:9], v[32:33]
	v_add_f64_e32 v[6:7], v[6:7], v[84:85]
	v_add_f64_e32 v[4:5], v[4:5], v[86:87]
	v_mul_f64_e32 v[172:173], s[10:11], v[114:115]
	v_mul_f64_e32 v[184:185], s[0:1], v[114:115]
	s_delay_alu instid0(VALU_DEP_4) | instskip(NEXT) | instid1(VALU_DEP_4)
	v_add_f64_e32 v[6:7], v[6:7], v[80:81]
	v_add_f64_e32 v[4:5], v[4:5], v[82:83]
	v_fma_f64 v[82:83], v[28:29], s[8:9], v[198:199]
	s_delay_alu instid0(VALU_DEP_3) | instskip(NEXT) | instid1(VALU_DEP_3)
	v_add_f64_e32 v[6:7], v[6:7], v[76:77]
	v_add_f64_e32 v[4:5], v[4:5], v[78:79]
	v_fma_f64 v[78:79], v[28:29], s[10:11], v[174:175]
	s_delay_alu instid0(VALU_DEP_3) | instskip(NEXT) | instid1(VALU_DEP_3)
	v_add_f64_e32 v[6:7], v[6:7], v[72:73]
	v_add_f64_e32 v[148:149], v[4:5], v[74:75]
	v_add_f64_e64 v[4:5], v[126:127], -v[72:73]
	v_fma_f64 v[74:75], v[28:29], s[14:15], v[154:155]
	s_delay_alu instid0(VALU_DEP_4) | instskip(SKIP_1) | instid1(VALU_DEP_4)
	v_add_f64_e32 v[150:151], v[6:7], v[134:135]
	v_add_f64_e32 v[6:7], v[126:127], v[72:73]
	v_mul_f64_e32 v[132:133], s[30:31], v[4:5]
	v_mul_f64_e32 v[124:125], s[18:19], v[4:5]
	;; [unrolled: 1-line block ×6, first 2 shown]
	v_fma_f64 v[58:59], v[20:21], s[8:9], v[132:133]
	v_mul_f64_e32 v[126:127], s[12:13], v[6:7]
	v_mul_f64_e32 v[196:197], s[10:11], v[6:7]
	s_delay_alu instid0(VALU_DEP_4) | instskip(NEXT) | instid1(VALU_DEP_4)
	v_fma_f64 v[72:73], v[22:23], s[24:25], v[134:135]
	v_add_f64_e32 v[58:59], v[58:59], v[176:177]
	s_delay_alu instid0(VALU_DEP_4)
	v_fma_f64 v[76:77], v[22:23], s[36:37], v[126:127]
	v_mul_f64_e32 v[176:177], s[10:11], v[26:27]
	v_fma_f64 v[80:81], v[22:23], s[20:21], v[196:197]
	v_add_f64_e32 v[72:73], v[72:73], v[202:203]
	v_add_f64_e32 v[58:59], v[74:75], v[58:59]
	v_fma_f64 v[74:75], v[30:31], s[28:29], v[156:157]
	v_add_f64_e32 v[76:77], v[76:77], v[254:255]
	v_add_f64_e32 v[80:81], v[80:81], v[246:247]
	v_mul_f64_e32 v[202:203], s[26:27], v[122:123]
	v_mul_f64_e32 v[246:247], s[18:19], v[118:119]
	;; [unrolled: 1-line block ×6, first 2 shown]
	v_add_f64_e32 v[72:73], v[74:75], v[72:73]
	v_fma_f64 v[74:75], v[140:141], s[12:13], v[162:163]
	s_delay_alu instid0(VALU_DEP_1) | instskip(SKIP_1) | instid1(VALU_DEP_1)
	v_add_f64_e32 v[58:59], v[74:75], v[58:59]
	v_fma_f64 v[74:75], v[152:153], s[36:37], v[164:165]
	v_add_f64_e32 v[74:75], v[74:75], v[72:73]
	v_fma_f64 v[72:73], v[158:159], s[10:11], v[170:171]
	s_delay_alu instid0(VALU_DEP_1) | instskip(SKIP_1) | instid1(VALU_DEP_1)
	v_add_f64_e32 v[72:73], v[72:73], v[58:59]
	v_fma_f64 v[58:59], v[160:161], s[34:35], v[172:173]
	v_add_f64_e32 v[74:75], v[58:59], v[74:75]
	v_fma_f64 v[58:59], v[20:21], s[12:13], v[124:125]
	s_delay_alu instid0(VALU_DEP_1) | instskip(SKIP_2) | instid1(VALU_DEP_3)
	v_add_f64_e32 v[58:59], v[58:59], v[200:201]
	v_mul_f64_e32 v[200:201], s[8:9], v[26:27]
	v_mul_f64_e32 v[26:27], s[12:13], v[26:27]
	v_add_f64_e32 v[58:59], v[78:79], v[58:59]
	v_fma_f64 v[78:79], v[30:31], s[20:21], v[176:177]
	s_delay_alu instid0(VALU_DEP_1) | instskip(SKIP_1) | instid1(VALU_DEP_1)
	v_add_f64_e32 v[76:77], v[78:79], v[76:77]
	v_fma_f64 v[78:79], v[140:141], s[14:15], v[178:179]
	v_add_f64_e32 v[58:59], v[78:79], v[58:59]
	v_fma_f64 v[78:79], v[152:153], s[16:17], v[180:181]
	s_delay_alu instid0(VALU_DEP_1) | instskip(SKIP_1) | instid1(VALU_DEP_1)
	v_add_f64_e32 v[78:79], v[78:79], v[76:77]
	v_fma_f64 v[76:77], v[158:159], s[0:1], v[182:183]
	;; [unrolled: 5-line block ×3, first 2 shown]
	v_add_f64_e32 v[58:59], v[58:59], v[248:249]
	v_mul_f64_e32 v[248:249], s[12:13], v[114:115]
	s_delay_alu instid0(VALU_DEP_2) | instskip(SKIP_1) | instid1(VALU_DEP_1)
	v_add_f64_e32 v[58:59], v[82:83], v[58:59]
	v_fma_f64 v[82:83], v[30:31], s[30:31], v[200:201]
	v_add_f64_e32 v[80:81], v[82:83], v[80:81]
	v_fma_f64 v[82:83], v[140:141], s[0:1], v[202:203]
	s_delay_alu instid0(VALU_DEP_1) | instskip(SKIP_1) | instid1(VALU_DEP_1)
	v_add_f64_e32 v[58:59], v[82:83], v[58:59]
	v_fma_f64 v[82:83], v[152:153], s[22:23], v[204:205]
	v_add_f64_e32 v[82:83], v[82:83], v[80:81]
	v_fma_f64 v[80:81], v[158:159], s[12:13], v[246:247]
	s_delay_alu instid0(VALU_DEP_1) | instskip(SKIP_1) | instid1(VALU_DEP_1)
	v_add_f64_e32 v[80:81], v[80:81], v[58:59]
	v_fma_f64 v[58:59], v[160:161], s[36:37], v[248:249]
	v_add_f64_e32 v[82:83], v[58:59], v[82:83]
	v_fma_f64 v[58:59], v[20:21], s[14:15], v[116:117]
	s_delay_alu instid0(VALU_DEP_1) | instskip(SKIP_2) | instid1(VALU_DEP_2)
	v_add_f64_e32 v[58:59], v[58:59], v[244:245]
	v_mul_f64_e32 v[244:245], s[14:15], v[6:7]
	v_mul_f64_e32 v[6:7], s[0:1], v[6:7]
	v_fma_f64 v[84:85], v[22:23], s[16:17], v[244:245]
	s_delay_alu instid0(VALU_DEP_2) | instskip(SKIP_1) | instid1(VALU_DEP_3)
	v_fma_f64 v[112:113], v[22:23], s[26:27], v[6:7]
	v_fma_f64 v[6:7], v[22:23], s[22:23], v[6:7]
	v_add_f64_e32 v[84:85], v[84:85], v[242:243]
	v_mul_f64_e32 v[242:243], s[26:27], v[24:25]
	v_mul_f64_e32 v[24:25], s[18:19], v[24:25]
	v_add_f64_e32 v[112:113], v[112:113], v[226:227]
	v_add_f64_e32 v[6:7], v[6:7], v[56:57]
	s_delay_alu instid0(VALU_DEP_4) | instskip(NEXT) | instid1(VALU_DEP_4)
	v_fma_f64 v[86:87], v[28:29], s[0:1], v[242:243]
	v_fma_f64 v[226:227], v[28:29], s[12:13], v[24:25]
	v_fma_f64 v[24:25], v[28:29], s[12:13], -v[24:25]
	s_delay_alu instid0(VALU_DEP_3) | instskip(SKIP_1) | instid1(VALU_DEP_1)
	v_add_f64_e32 v[58:59], v[86:87], v[58:59]
	v_fma_f64 v[86:87], v[30:31], s[22:23], v[250:251]
	v_add_f64_e32 v[84:85], v[86:87], v[84:85]
	v_fma_f64 v[86:87], v[140:141], s[10:11], v[252:253]
	s_delay_alu instid0(VALU_DEP_1) | instskip(SKIP_1) | instid1(VALU_DEP_1)
	v_add_f64_e32 v[58:59], v[86:87], v[58:59]
	v_fma_f64 v[86:87], v[152:153], s[34:35], v[254:255]
	v_add_f64_e32 v[86:87], v[86:87], v[84:85]
	s_delay_alu instid0(VALU_DEP_3) | instskip(SKIP_1) | instid1(VALU_DEP_1)
	v_add_f64_e32 v[84:85], v[34:35], v[58:59]
	v_mul_f64_e32 v[34:35], s[8:9], v[114:115]
	v_fma_f64 v[58:59], v[160:161], s[30:31], v[34:35]
	s_delay_alu instid0(VALU_DEP_1) | instskip(SKIP_2) | instid1(VALU_DEP_2)
	v_add_f64_e32 v[86:87], v[58:59], v[86:87]
	v_fma_f64 v[58:59], v[20:21], s[0:1], v[4:5]
	v_fma_f64 v[4:5], v[20:21], s[0:1], -v[4:5]
	v_add_f64_e32 v[58:59], v[58:59], v[228:229]
	s_delay_alu instid0(VALU_DEP_2) | instskip(SKIP_1) | instid1(VALU_DEP_3)
	v_add_f64_e32 v[4:5], v[4:5], v[224:225]
	v_mul_f64_e32 v[228:229], s[14:15], v[114:115]
	v_add_f64_e32 v[58:59], v[226:227], v[58:59]
	v_fma_f64 v[226:227], v[30:31], s[36:37], v[26:27]
	s_delay_alu instid0(VALU_DEP_4) | instskip(SKIP_2) | instid1(VALU_DEP_4)
	v_add_f64_e32 v[4:5], v[24:25], v[4:5]
	v_fma_f64 v[24:25], v[30:31], s[18:19], v[26:27]
	v_fma_f64 v[26:27], v[160:161], s[16:17], v[228:229]
	v_add_f64_e32 v[112:113], v[226:227], v[112:113]
	v_fma_f64 v[226:227], v[140:141], s[8:9], v[122:123]
	s_delay_alu instid0(VALU_DEP_4) | instskip(SKIP_1) | instid1(VALU_DEP_3)
	v_add_f64_e32 v[6:7], v[24:25], v[6:7]
	v_fma_f64 v[24:25], v[140:141], s[8:9], -v[122:123]
	v_add_f64_e32 v[58:59], v[226:227], v[58:59]
	v_fma_f64 v[226:227], v[152:153], s[30:31], v[120:121]
	s_delay_alu instid0(VALU_DEP_3) | instskip(SKIP_1) | instid1(VALU_DEP_3)
	v_add_f64_e32 v[4:5], v[24:25], v[4:5]
	v_fma_f64 v[24:25], v[152:153], s[24:25], v[120:121]
	v_add_f64_e32 v[226:227], v[226:227], v[112:113]
	v_fma_f64 v[112:113], v[158:159], s[14:15], v[118:119]
	s_delay_alu instid0(VALU_DEP_3) | instskip(SKIP_1) | instid1(VALU_DEP_3)
	v_add_f64_e32 v[6:7], v[24:25], v[6:7]
	v_fma_f64 v[24:25], v[158:159], s[14:15], -v[118:119]
	v_add_f64_e32 v[112:113], v[112:113], v[58:59]
	v_fma_f64 v[58:59], v[160:161], s[28:29], v[228:229]
	s_delay_alu instid0(VALU_DEP_3) | instskip(SKIP_2) | instid1(VALU_DEP_4)
	v_add_f64_e32 v[56:57], v[24:25], v[4:5]
	v_fma_f64 v[4:5], v[20:21], s[14:15], -v[116:117]
	v_fma_f64 v[24:25], v[28:29], s[0:1], -v[242:243]
	v_add_f64_e32 v[114:115], v[58:59], v[226:227]
	v_add_f64_e32 v[58:59], v[26:27], v[6:7]
	s_delay_alu instid0(VALU_DEP_4) | instskip(SKIP_2) | instid1(VALU_DEP_3)
	v_add_f64_e32 v[4:5], v[4:5], v[218:219]
	v_fma_f64 v[6:7], v[22:23], s[28:29], v[244:245]
	v_fma_f64 v[26:27], v[160:161], s[24:25], v[34:35]
	v_add_f64_e32 v[4:5], v[24:25], v[4:5]
	s_delay_alu instid0(VALU_DEP_3) | instskip(SKIP_1) | instid1(VALU_DEP_1)
	v_add_f64_e32 v[6:7], v[6:7], v[216:217]
	v_fma_f64 v[24:25], v[30:31], s[26:27], v[250:251]
	v_add_f64_e32 v[6:7], v[24:25], v[6:7]
	v_fma_f64 v[24:25], v[140:141], s[10:11], -v[252:253]
	s_delay_alu instid0(VALU_DEP_1) | instskip(SKIP_1) | instid1(VALU_DEP_1)
	v_add_f64_e32 v[4:5], v[24:25], v[4:5]
	v_fma_f64 v[24:25], v[152:153], s[20:21], v[254:255]
	v_add_f64_e32 v[6:7], v[24:25], v[6:7]
	v_fma_f64 v[24:25], v[158:159], s[8:9], -v[32:33]
	s_delay_alu instid0(VALU_DEP_2) | instskip(NEXT) | instid1(VALU_DEP_2)
	v_add_f64_e32 v[118:119], v[26:27], v[6:7]
	v_add_f64_e32 v[116:117], v[24:25], v[4:5]
	v_fma_f64 v[4:5], v[20:21], s[10:11], -v[194:195]
	v_fma_f64 v[6:7], v[22:23], s[34:35], v[196:197]
	v_fma_f64 v[24:25], v[28:29], s[8:9], -v[198:199]
	v_fma_f64 v[26:27], v[160:161], s[18:19], v[248:249]
	s_delay_alu instid0(VALU_DEP_4) | instskip(NEXT) | instid1(VALU_DEP_4)
	v_add_f64_e32 v[4:5], v[4:5], v[214:215]
	v_add_f64_e32 v[6:7], v[6:7], v[212:213]
	s_delay_alu instid0(VALU_DEP_2) | instskip(SKIP_1) | instid1(VALU_DEP_1)
	v_add_f64_e32 v[4:5], v[24:25], v[4:5]
	v_fma_f64 v[24:25], v[30:31], s[24:25], v[200:201]
	v_add_f64_e32 v[6:7], v[24:25], v[6:7]
	v_fma_f64 v[24:25], v[140:141], s[0:1], -v[202:203]
	s_delay_alu instid0(VALU_DEP_1) | instskip(SKIP_1) | instid1(VALU_DEP_1)
	v_add_f64_e32 v[4:5], v[24:25], v[4:5]
	v_fma_f64 v[24:25], v[152:153], s[26:27], v[204:205]
	v_add_f64_e32 v[6:7], v[24:25], v[6:7]
	v_fma_f64 v[24:25], v[158:159], s[12:13], -v[246:247]
	s_delay_alu instid0(VALU_DEP_2) | instskip(NEXT) | instid1(VALU_DEP_2)
	v_add_f64_e32 v[122:123], v[26:27], v[6:7]
	v_add_f64_e32 v[120:121], v[24:25], v[4:5]
	v_fma_f64 v[4:5], v[20:21], s[12:13], -v[124:125]
	v_fma_f64 v[6:7], v[22:23], s[18:19], v[126:127]
	v_fma_f64 v[24:25], v[28:29], s[10:11], -v[174:175]
	v_fma_f64 v[26:27], v[160:161], s[22:23], v[184:185]
	s_delay_alu instid0(VALU_DEP_4) | instskip(NEXT) | instid1(VALU_DEP_4)
	v_add_f64_e32 v[4:5], v[4:5], v[210:211]
	v_add_f64_e32 v[6:7], v[6:7], v[142:143]
	s_delay_alu instid0(VALU_DEP_2) | instskip(SKIP_1) | instid1(VALU_DEP_1)
	v_add_f64_e32 v[4:5], v[24:25], v[4:5]
	v_fma_f64 v[24:25], v[30:31], s[34:35], v[176:177]
	v_add_f64_e32 v[6:7], v[24:25], v[6:7]
	v_fma_f64 v[24:25], v[140:141], s[14:15], -v[178:179]
	s_delay_alu instid0(VALU_DEP_1) | instskip(SKIP_1) | instid1(VALU_DEP_1)
	v_add_f64_e32 v[4:5], v[24:25], v[4:5]
	v_fma_f64 v[24:25], v[152:153], s[28:29], v[180:181]
	v_add_f64_e32 v[6:7], v[24:25], v[6:7]
	v_fma_f64 v[24:25], v[158:159], s[0:1], -v[182:183]
	s_delay_alu instid0(VALU_DEP_2) | instskip(NEXT) | instid1(VALU_DEP_2)
	v_add_f64_e32 v[126:127], v[26:27], v[6:7]
	v_add_f64_e32 v[124:125], v[24:25], v[4:5]
	v_fma_f64 v[4:5], v[20:21], s[8:9], -v[132:133]
	v_fma_f64 v[20:21], v[28:29], s[14:15], -v[154:155]
	v_fma_f64 v[6:7], v[22:23], s[30:31], v[134:135]
	v_fma_f64 v[22:23], v[30:31], s[16:17], v[156:157]
	s_delay_alu instid0(VALU_DEP_4) | instskip(NEXT) | instid1(VALU_DEP_3)
	v_add_f64_e32 v[4:5], v[4:5], v[136:137]
	v_add_f64_e32 v[6:7], v[6:7], v[138:139]
	s_delay_alu instid0(VALU_DEP_2) | instskip(SKIP_1) | instid1(VALU_DEP_3)
	v_add_f64_e32 v[4:5], v[20:21], v[4:5]
	v_fma_f64 v[20:21], v[140:141], s[12:13], -v[162:163]
	v_add_f64_e32 v[6:7], v[22:23], v[6:7]
	v_fma_f64 v[22:23], v[152:153], s[18:19], v[164:165]
	s_delay_alu instid0(VALU_DEP_3) | instskip(SKIP_1) | instid1(VALU_DEP_3)
	v_add_f64_e32 v[4:5], v[20:21], v[4:5]
	v_fma_f64 v[20:21], v[158:159], s[10:11], -v[170:171]
	v_add_f64_e32 v[6:7], v[22:23], v[6:7]
	v_fma_f64 v[22:23], v[160:161], s[20:21], v[172:173]
	s_delay_alu instid0(VALU_DEP_3)
	v_add_f64_e32 v[132:133], v[20:21], v[4:5]
	scratch_load_b32 v4, off, off offset:2116 th:TH_LOAD_LU ; 4-byte Folded Reload
	v_add_f64_e32 v[134:135], v[22:23], v[6:7]
	s_wait_loadcnt 0x0
	ds_store_b128 v4, v[104:107]
	ds_store_b128 v4, v[0:3] offset:112
	ds_store_b128 v4, v[16:19] offset:224
	;; [unrolled: 1-line block ×10, first 2 shown]
	scratch_load_b32 v0, off, off offset:2120 th:TH_LOAD_LU ; 4-byte Folded Reload
	s_wait_loadcnt 0x0
	ds_store_b128 v0, v[128:131]
	ds_store_b128 v0, v[68:71] offset:112
	ds_store_b128 v0, v[230:233] offset:224
	;; [unrolled: 1-line block ×10, first 2 shown]
	ds_store_b128 v223, v[148:151]
	ds_store_b128 v223, v[72:75] offset:112
	ds_store_b128 v223, v[76:79] offset:224
	;; [unrolled: 1-line block ×10, first 2 shown]
	s_and_saveexec_b32 s33, vcc_lo
	s_cbranch_execz .LBB0_9
; %bb.8:
	scratch_load_b128 v[14:17], off, off offset:2252 th:TH_LOAD_LU ; 16-byte Folded Reload
	s_wait_loadcnt 0x0
	v_mul_f64_e32 v[0:1], v[16:17], v[52:53]
	v_mul_f64_e32 v[2:3], v[16:17], v[54:55]
	s_clause 0xf
	scratch_load_b128 v[16:19], off, off offset:2268 th:TH_LOAD_LU
	scratch_load_b128 v[20:23], off, off offset:132 th:TH_LOAD_LU
	;; [unrolled: 1-line block ×16, first 2 shown]
	v_fma_f64 v[12:13], v[14:15], v[54:55], -v[0:1]
	v_fma_f64 v[14:15], v[14:15], v[52:53], v[2:3]
	s_wait_loadcnt 0xe
	v_mul_f64_e32 v[4:5], v[18:19], v[22:23]
	v_mul_f64_e32 v[6:7], v[18:19], v[20:21]
	s_wait_loadcnt 0xc
	v_mul_f64_e32 v[8:9], v[58:59], v[34:35]
	s_wait_loadcnt 0xa
	;; [unrolled: 2-line block ×3, first 2 shown]
	v_mul_f64_e32 v[26:27], v[80:81], v[108:109]
	v_mul_f64_e32 v[24:25], v[80:81], v[110:111]
	s_wait_loadcnt 0x4
	v_mul_f64_e32 v[28:29], v[84:85], v[102:103]
	s_wait_loadcnt 0x2
	v_mul_f64_e32 v[30:31], v[90:91], v[106:107]
	v_mul_f64_e32 v[52:53], v[90:91], v[104:105]
	s_wait_loadcnt 0x0
	v_mul_f64_e32 v[54:55], v[94:95], v[98:99]
	v_fma_f64 v[0:1], v[16:17], v[20:21], v[4:5]
	v_fma_f64 v[2:3], v[16:17], v[22:23], -v[6:7]
	v_mul_f64_e32 v[4:5], v[58:59], v[32:33]
	v_mul_f64_e32 v[6:7], v[62:63], v[64:65]
	v_fma_f64 v[26:27], v[78:79], v[110:111], -v[26:27]
	s_clause 0x1
	scratch_load_b128 v[110:113], off, off offset:2156 th:TH_LOAD_LU
	scratch_load_b128 v[114:117], off, off offset:36 th:TH_LOAD_LU
	v_fma_f64 v[16:17], v[56:57], v[32:33], v[8:9]
	v_mul_f64_e32 v[32:33], v[84:85], v[100:101]
	v_fma_f64 v[28:29], v[82:83], v[100:101], v[28:29]
	v_mul_f64_e32 v[22:23], v[72:73], v[74:75]
	;; [unrolled: 2-line block ×3, first 2 shown]
	v_fma_f64 v[24:25], v[78:79], v[108:109], v[24:25]
	v_fma_f64 v[30:31], v[88:89], v[104:105], v[30:31]
	v_fma_f64 v[52:53], v[88:89], v[106:107], -v[52:53]
	v_fma_f64 v[54:55], v[92:93], v[96:97], v[54:55]
	v_add_f64_e64 v[10:11], v[14:15], -v[0:1]
	v_add_f64_e64 v[18:19], v[12:13], -v[2:3]
	v_fma_f64 v[4:5], v[56:57], v[34:35], -v[4:5]
	v_fma_f64 v[6:7], v[60:61], v[66:67], -v[6:7]
	v_mul_f64_e32 v[56:57], v[94:95], v[96:97]
	v_add_f64_e32 v[58:59], v[12:13], v[2:3]
	v_add_f64_e32 v[12:13], v[50:51], v[12:13]
	v_fma_f64 v[32:33], v[82:83], v[102:103], -v[32:33]
	v_add_f64_e32 v[60:61], v[14:15], v[0:1]
	v_fma_f64 v[22:23], v[70:71], v[76:77], -v[22:23]
	v_add_f64_e64 v[34:35], v[16:17], -v[8:9]
	v_fma_f64 v[20:21], v[70:71], v[74:75], v[20:21]
	v_add_f64_e32 v[14:15], v[48:49], v[14:15]
	v_mul_f64_e32 v[62:63], s[20:21], v[10:11]
	v_mul_f64_e32 v[64:65], s[20:21], v[18:19]
	;; [unrolled: 1-line block ×3, first 2 shown]
	v_add_f64_e64 v[82:83], v[4:5], -v[6:7]
	v_add_f64_e32 v[84:85], v[4:5], v[6:7]
	v_fma_f64 v[56:57], v[92:93], v[98:99], -v[56:57]
	v_add_f64_e32 v[4:5], v[12:13], v[4:5]
	v_mul_f64_e32 v[68:69], s[18:19], v[18:19]
	v_mul_f64_e32 v[70:71], s[16:17], v[10:11]
	;; [unrolled: 1-line block ×10, first 2 shown]
	v_add_f64_e32 v[12:13], v[14:15], v[16:17]
	v_add_f64_e32 v[174:175], v[32:33], v[52:53]
	v_fma_f64 v[92:93], v[58:59], s[10:11], v[62:63]
	v_fma_f64 v[94:95], v[60:61], s[10:11], -v[64:65]
	v_fma_f64 v[62:63], v[58:59], s[10:11], -v[62:63]
	v_fma_f64 v[64:65], v[60:61], s[10:11], v[64:65]
	v_fma_f64 v[96:97], v[58:59], s[12:13], v[66:67]
	v_fma_f64 v[66:67], v[58:59], s[12:13], -v[66:67]
	v_add_f64_e32 v[4:5], v[4:5], v[56:57]
	v_fma_f64 v[98:99], v[60:61], s[12:13], -v[68:69]
	v_fma_f64 v[68:69], v[60:61], s[12:13], v[68:69]
	v_fma_f64 v[100:101], v[58:59], s[14:15], v[70:71]
	v_fma_f64 v[70:71], v[58:59], s[14:15], -v[70:71]
	v_fma_f64 v[102:103], v[58:59], s[8:9], -v[72:73]
	v_fma_f64 v[104:105], v[60:61], s[8:9], v[74:75]
	v_fma_f64 v[106:107], v[60:61], s[14:15], v[76:77]
	v_fma_f64 v[76:77], v[60:61], s[14:15], -v[76:77]
	v_fma_f64 v[72:73], v[58:59], s[8:9], v[72:73]
	v_fma_f64 v[74:75], v[60:61], s[8:9], -v[74:75]
	;; [unrolled: 2-line block ×4, first 2 shown]
	v_mul_f64_e32 v[60:61], s[18:19], v[34:35]
	v_mul_f64_e32 v[34:35], s[30:31], v[34:35]
	;; [unrolled: 1-line block ×4, first 2 shown]
	v_add_f64_e32 v[12:13], v[12:13], v[54:55]
	v_add_f64_e32 v[92:93], v[50:51], v[92:93]
	;; [unrolled: 1-line block ×22, first 2 shown]
	v_fma_f64 v[48:49], v[84:85], s[12:13], v[60:61]
	v_fma_f64 v[58:59], v[84:85], s[12:13], -v[60:61]
	v_fma_f64 v[60:61], v[84:85], s[8:9], v[34:35]
	v_fma_f64 v[34:35], v[84:85], s[8:9], -v[34:35]
	v_add_f64_e32 v[12:13], v[12:13], v[28:29]
	v_add_f64_e32 v[4:5], v[4:5], v[22:23]
	v_add_f64_e32 v[48:49], v[48:49], v[72:73]
	v_add_f64_e32 v[58:59], v[58:59], v[102:103]
	v_add_f64_e32 v[60:61], v[60:61], v[108:109]
	v_add_f64_e32 v[10:11], v[34:35], v[10:11]
	v_add_f64_e32 v[12:13], v[12:13], v[20:21]
	v_add_f64_e32 v[4:5], v[4:5], v[26:27]
	s_delay_alu instid0(VALU_DEP_2) | instskip(NEXT) | instid1(VALU_DEP_2)
	v_add_f64_e32 v[12:13], v[12:13], v[24:25]
	v_add_f64_e32 v[4:5], v[4:5], v[52:53]
	s_delay_alu instid0(VALU_DEP_2)
	v_add_f64_e32 v[12:13], v[12:13], v[30:31]
	s_wait_loadcnt 0x0
	v_mul_f64_e32 v[78:79], v[112:113], v[116:117]
	v_mul_f64_e32 v[80:81], v[112:113], v[114:115]
	v_fma_f64 v[112:113], v[84:85], s[0:1], v[86:87]
	v_fma_f64 v[86:87], v[84:85], s[0:1], -v[86:87]
	s_delay_alu instid0(VALU_DEP_4) | instskip(NEXT) | instid1(VALU_DEP_4)
	v_fma_f64 v[78:79], v[110:111], v[114:115], v[78:79]
	v_fma_f64 v[80:81], v[110:111], v[116:117], -v[80:81]
	v_add_f64_e32 v[110:111], v[16:17], v[8:9]
	v_mul_f64_e32 v[16:17], s[28:29], v[82:83]
	v_fma_f64 v[114:115], v[84:85], s[14:15], v[88:89]
	v_fma_f64 v[88:89], v[84:85], s[14:15], -v[88:89]
	v_fma_f64 v[116:117], v[84:85], s[10:11], v[90:91]
	v_fma_f64 v[90:91], v[84:85], s[10:11], -v[90:91]
	v_mul_f64_e32 v[84:85], s[34:35], v[82:83]
	v_mul_f64_e32 v[82:83], s[30:31], v[82:83]
	v_add_f64_e32 v[62:63], v[86:87], v[62:63]
	v_add_f64_e32 v[12:13], v[12:13], v[78:79]
	;; [unrolled: 1-line block ×3, first 2 shown]
	v_fma_f64 v[120:121], v[110:111], s[0:1], -v[14:15]
	v_fma_f64 v[14:15], v[110:111], s[0:1], v[14:15]
	v_fma_f64 v[122:123], v[110:111], s[14:15], -v[16:17]
	v_fma_f64 v[16:17], v[110:111], s[14:15], v[16:17]
	;; [unrolled: 2-line block ×5, first 2 shown]
	v_add_f64_e64 v[110:111], v[54:55], -v[78:79]
	v_add_f64_e32 v[138:139], v[56:57], v[80:81]
	v_add_f64_e64 v[56:57], v[56:57], -v[80:81]
	v_add_f64_e32 v[54:55], v[54:55], v[78:79]
	v_add_f64_e32 v[66:67], v[88:89], v[66:67]
	;; [unrolled: 1-line block ×14, first 2 shown]
	v_mul_f64_e32 v[130:131], s[18:19], v[110:111]
	v_mul_f64_e32 v[132:133], s[26:27], v[110:111]
	;; [unrolled: 1-line block ×8, first 2 shown]
	v_add_f64_e32 v[76:77], v[124:125], v[76:77]
	v_add_f64_e32 v[18:19], v[128:129], v[18:19]
	;; [unrolled: 1-line block ×3, first 2 shown]
	s_clause 0x1
	scratch_load_b32 v4, off, off offset:784 th:TH_LOAD_LU
	scratch_load_b32 v5, off, off offset:780 th:TH_LOAD_LU
	v_add_f64_e32 v[0:1], v[6:7], v[0:1]
	v_fma_f64 v[140:141], v[138:139], s[12:13], v[130:131]
	v_fma_f64 v[130:131], v[138:139], s[12:13], -v[130:131]
	v_fma_f64 v[142:143], v[138:139], s[0:1], v[132:133]
	v_fma_f64 v[132:133], v[138:139], s[0:1], -v[132:133]
	;; [unrolled: 2-line block ×5, first 2 shown]
	v_mul_f64_e32 v[138:139], s[18:19], v[56:57]
	v_mul_f64_e32 v[56:57], s[16:17], v[56:57]
	v_fma_f64 v[158:159], v[54:55], s[0:1], -v[150:151]
	v_fma_f64 v[150:151], v[54:55], s[0:1], v[150:151]
	v_fma_f64 v[160:161], v[54:55], s[8:9], -v[152:153]
	v_fma_f64 v[152:153], v[54:55], s[8:9], v[152:153]
	;; [unrolled: 2-line block ×3, first 2 shown]
	v_add_f64_e32 v[62:63], v[130:131], v[62:63]
	v_add_f64_e32 v[64:65], v[142:143], v[64:65]
	;; [unrolled: 1-line block ×9, first 2 shown]
	v_fma_f64 v[156:157], v[54:55], s[12:13], -v[138:139]
	v_fma_f64 v[138:139], v[54:55], s[12:13], v[138:139]
	v_fma_f64 v[164:165], v[54:55], s[14:15], -v[56:57]
	v_fma_f64 v[54:55], v[54:55], s[14:15], v[56:57]
	v_add_f64_e64 v[56:57], v[28:29], -v[30:31]
	v_add_f64_e32 v[28:29], v[28:29], v[30:31]
	v_add_f64_e32 v[84:85], v[152:153], v[84:85]
	;; [unrolled: 1-line block ×10, first 2 shown]
	v_mul_f64_e32 v[166:167], s[24:25], v[56:57]
	v_mul_f64_e32 v[168:169], s[20:21], v[56:57]
	;; [unrolled: 1-line block ×5, first 2 shown]
	v_fma_f64 v[176:177], v[174:175], s[8:9], v[166:167]
	v_fma_f64 v[166:167], v[174:175], s[8:9], -v[166:167]
	v_fma_f64 v[178:179], v[174:175], s[10:11], v[168:169]
	v_fma_f64 v[168:169], v[174:175], s[10:11], -v[168:169]
	;; [unrolled: 2-line block ×5, first 2 shown]
	v_add_f64_e64 v[174:175], v[22:23], -v[26:27]
	v_add_f64_e32 v[22:23], v[22:23], v[26:27]
	v_add_f64_e64 v[26:27], v[20:21], -v[24:25]
	v_add_f64_e32 v[20:21], v[20:21], v[24:25]
	;; [unrolled: 2-line block ×3, first 2 shown]
	v_add_f64_e32 v[64:65], v[178:179], v[64:65]
	v_add_f64_e32 v[66:67], v[168:169], v[66:67]
	;; [unrolled: 1-line block ×7, first 2 shown]
	v_mul_f64_e32 v[80:81], s[18:19], v[174:175]
	v_mul_f64_e32 v[54:55], s[16:17], v[174:175]
	;; [unrolled: 1-line block ×14, first 2 shown]
	v_fma_f64 v[106:107], v[20:21], s[12:13], -v[80:81]
	v_fma_f64 v[80:81], v[20:21], s[12:13], v[80:81]
	v_fma_f64 v[82:83], v[22:23], s[14:15], v[30:31]
	v_fma_f64 v[30:31], v[22:23], s[14:15], -v[30:31]
	v_fma_f64 v[192:193], v[28:29], s[8:9], -v[32:33]
	v_fma_f64 v[32:33], v[28:29], s[8:9], v[32:33]
	v_fma_f64 v[194:195], v[28:29], s[10:11], -v[186:187]
	v_fma_f64 v[186:187], v[28:29], s[10:11], v[186:187]
	;; [unrolled: 2-line block ×5, first 2 shown]
	v_add_f64_e32 v[28:29], v[112:113], v[92:93]
	v_add_f64_e32 v[92:93], v[120:121], v[94:95]
	v_fma_f64 v[90:91], v[22:23], s[8:9], v[50:51]
	v_fma_f64 v[50:51], v[22:23], s[8:9], -v[50:51]
	v_fma_f64 v[94:95], v[22:23], s[12:13], v[52:53]
	v_fma_f64 v[52:53], v[22:23], s[12:13], -v[52:53]
	;; [unrolled: 2-line block ×4, first 2 shown]
	v_add_f64_e32 v[112:113], v[172:173], v[58:59]
	v_fma_f64 v[102:103], v[20:21], s[14:15], -v[54:55]
	v_fma_f64 v[54:55], v[20:21], s[14:15], v[54:55]
	v_fma_f64 v[104:105], v[20:21], s[8:9], -v[78:79]
	v_fma_f64 v[78:79], v[20:21], s[8:9], v[78:79]
	v_fma_f64 v[110:111], v[20:21], s[10:11], -v[100:101]
	v_add_f64_e32 v[32:33], v[32:33], v[14:15]
	v_add_f64_e32 v[86:87], v[194:195], v[86:87]
	;; [unrolled: 1-line block ×10, first 2 shown]
	v_mul_f64_e32 v[92:93], s[22:23], v[174:175]
	v_add_f64_e32 v[34:35], v[200:201], v[18:19]
	v_add_f64_e32 v[50:51], v[50:51], v[66:67]
	;; [unrolled: 1-line block ×14, first 2 shown]
	v_fma_f64 v[108:109], v[20:21], s[0:1], -v[92:93]
	v_fma_f64 v[92:93], v[20:21], s[0:1], v[92:93]
	v_fma_f64 v[20:21], v[20:21], s[10:11], v[100:101]
	v_add_f64_e32 v[100:101], v[186:187], v[16:17]
	v_add_f64_e32 v[16:17], v[104:105], v[86:87]
	v_add_f64_e32 v[68:69], v[110:111], v[34:35]
	s_wait_loadcnt 0x1
	v_mul_u32_u24_e32 v4, 0x4d, v4
	s_wait_loadcnt 0x0
	s_delay_alu instid0(VALU_DEP_1)
	v_add_lshl_u32 v4, v4, v5, 4
	v_add_f64_e32 v[10:11], v[82:83], v[26:27]
	v_add_f64_e32 v[8:9], v[102:103], v[28:29]
	;; [unrolled: 1-line block ×6, first 2 shown]
	ds_store_b128 v4, v[60:63] offset:224
	ds_store_b128 v4, v[56:59] offset:336
	;; [unrolled: 1-line block ×9, first 2 shown]
	ds_store_b128 v4, v[0:3]
	ds_store_b128 v4, v[68:71] offset:1120
.LBB0_9:
	s_or_b32 exec_lo, exec_lo, s33
	global_wb scope:SCOPE_SE
	s_wait_dscnt 0x0
	s_barrier_signal -1
	s_barrier_wait -1
	global_inv scope:SCOPE_SE
	s_clause 0x5
	scratch_load_b128 v[6:9], off, off offset:148 th:TH_LOAD_LU
	scratch_load_b128 v[26:29], off, off offset:164 th:TH_LOAD_LU
	;; [unrolled: 1-line block ×6, first 2 shown]
	ds_load_b128 v[0:3], v220 offset:6160
	scratch_load_b128 v[30:33], off, off offset:868 th:TH_LOAD_LU ; 16-byte Folded Reload
	s_mov_b32 s10, 0x134454ff
	s_mov_b32 s11, 0xbfee6f0e
	;; [unrolled: 1-line block ×3, first 2 shown]
	s_wait_alu 0xfffe
	s_mov_b32 s12, s10
	s_mov_b32 s0, 0x4755a5e
	;; [unrolled: 1-line block ×4, first 2 shown]
	s_wait_alu 0xfffe
	s_mov_b32 s8, s0
	s_mov_b32 s14, 0x372fe950
	;; [unrolled: 1-line block ×3, first 2 shown]
	s_wait_loadcnt_dscnt 0x600
	v_mul_f64_e32 v[4:5], v[8:9], v[2:3]
	s_delay_alu instid0(VALU_DEP_1) | instskip(SKIP_1) | instid1(VALU_DEP_1)
	v_fma_f64 v[4:5], v[6:7], v[0:1], v[4:5]
	v_mul_f64_e32 v[0:1], v[8:9], v[0:1]
	v_fma_f64 v[6:7], v[6:7], v[2:3], -v[0:1]
	ds_load_b128 v[0:3], v220 offset:12320
	s_wait_loadcnt_dscnt 0x400
	v_mul_f64_e32 v[8:9], v[12:13], v[2:3]
	s_delay_alu instid0(VALU_DEP_1) | instskip(SKIP_1) | instid1(VALU_DEP_1)
	v_fma_f64 v[8:9], v[10:11], v[0:1], v[8:9]
	v_mul_f64_e32 v[0:1], v[12:13], v[0:1]
	v_fma_f64 v[10:11], v[10:11], v[2:3], -v[0:1]
	ds_load_b128 v[0:3], v220 offset:18480
	s_wait_loadcnt_dscnt 0x200
	v_mul_f64_e32 v[12:13], v[16:17], v[2:3]
	s_delay_alu instid0(VALU_DEP_1) | instskip(SKIP_1) | instid1(VALU_DEP_2)
	v_fma_f64 v[12:13], v[14:15], v[0:1], v[12:13]
	v_mul_f64_e32 v[0:1], v[16:17], v[0:1]
	v_add_f64_e64 v[66:67], v[8:9], -v[12:13]
	s_delay_alu instid0(VALU_DEP_2) | instskip(SKIP_4) | instid1(VALU_DEP_2)
	v_fma_f64 v[14:15], v[14:15], v[2:3], -v[0:1]
	ds_load_b128 v[0:3], v220 offset:24640
	s_wait_loadcnt_dscnt 0x100
	v_mul_f64_e32 v[16:17], v[24:25], v[2:3]
	v_add_f64_e64 v[62:63], v[10:11], -v[14:15]
	v_fma_f64 v[20:21], v[22:23], v[0:1], v[16:17]
	v_mul_f64_e32 v[0:1], v[24:25], v[0:1]
	s_delay_alu instid0(VALU_DEP_2) | instskip(NEXT) | instid1(VALU_DEP_2)
	v_add_f64_e64 v[64:65], v[4:5], -v[20:21]
	v_fma_f64 v[22:23], v[22:23], v[2:3], -v[0:1]
	ds_load_b128 v[0:3], v220 offset:7040
	s_wait_dscnt 0x0
	v_mul_f64_e32 v[16:17], v[28:29], v[2:3]
	v_add_f64_e64 v[60:61], v[6:7], -v[22:23]
	s_delay_alu instid0(VALU_DEP_2) | instskip(SKIP_1) | instid1(VALU_DEP_1)
	v_fma_f64 v[24:25], v[26:27], v[0:1], v[16:17]
	v_mul_f64_e32 v[0:1], v[28:29], v[0:1]
	v_fma_f64 v[26:27], v[26:27], v[2:3], -v[0:1]
	ds_load_b128 v[0:3], v220 offset:13200
	s_wait_loadcnt_dscnt 0x0
	v_mul_f64_e32 v[16:17], v[32:33], v[2:3]
	s_delay_alu instid0(VALU_DEP_1) | instskip(SKIP_1) | instid1(VALU_DEP_1)
	v_fma_f64 v[28:29], v[30:31], v[0:1], v[16:17]
	v_mul_f64_e32 v[0:1], v[32:33], v[0:1]
	v_fma_f64 v[30:31], v[30:31], v[2:3], -v[0:1]
	ds_load_b128 v[0:3], v220 offset:19360
	s_wait_dscnt 0x0
	v_mul_f64_e32 v[16:17], v[50:51], v[2:3]
	s_delay_alu instid0(VALU_DEP_1) | instskip(SKIP_1) | instid1(VALU_DEP_1)
	v_fma_f64 v[32:33], v[48:49], v[0:1], v[16:17]
	v_mul_f64_e32 v[0:1], v[50:51], v[0:1]
	v_fma_f64 v[34:35], v[48:49], v[2:3], -v[0:1]
	scratch_load_b128 v[48:51], off, off offset:820 th:TH_LOAD_LU ; 16-byte Folded Reload
	ds_load_b128 v[0:3], v220 offset:25520
	s_wait_loadcnt_dscnt 0x0
	v_mul_f64_e32 v[16:17], v[50:51], v[2:3]
	s_delay_alu instid0(VALU_DEP_1) | instskip(SKIP_1) | instid1(VALU_DEP_2)
	v_fma_f64 v[52:53], v[48:49], v[0:1], v[16:17]
	v_mul_f64_e32 v[0:1], v[50:51], v[0:1]
	v_add_f64_e64 v[160:161], v[24:25], -v[52:53]
	s_delay_alu instid0(VALU_DEP_2) | instskip(SKIP_4) | instid1(VALU_DEP_1)
	v_fma_f64 v[54:55], v[48:49], v[2:3], -v[0:1]
	scratch_load_b128 v[48:51], off, off offset:852 th:TH_LOAD_LU ; 16-byte Folded Reload
	ds_load_b128 v[0:3], v220 offset:7920
	s_wait_loadcnt_dscnt 0x0
	v_mul_f64_e32 v[16:17], v[50:51], v[2:3]
	v_fma_f64 v[136:137], v[48:49], v[0:1], v[16:17]
	v_mul_f64_e32 v[0:1], v[50:51], v[0:1]
	s_delay_alu instid0(VALU_DEP_1) | instskip(SKIP_4) | instid1(VALU_DEP_1)
	v_fma_f64 v[132:133], v[48:49], v[2:3], -v[0:1]
	scratch_load_b128 v[48:51], off, off offset:804 th:TH_LOAD_LU ; 16-byte Folded Reload
	ds_load_b128 v[0:3], v220 offset:14080
	s_wait_loadcnt_dscnt 0x0
	v_mul_f64_e32 v[16:17], v[50:51], v[2:3]
	v_fma_f64 v[142:143], v[48:49], v[0:1], v[16:17]
	v_mul_f64_e32 v[0:1], v[50:51], v[0:1]
	s_delay_alu instid0(VALU_DEP_1) | instskip(SKIP_4) | instid1(VALU_DEP_1)
	;; [unrolled: 8-line block ×19, first 2 shown]
	v_fma_f64 v[74:75], v[48:49], v[2:3], -v[0:1]
	scratch_load_b128 v[48:51], off, off offset:1236 th:TH_LOAD_LU ; 16-byte Folded Reload
	ds_load_b128 v[0:3], v220 offset:29920
	s_wait_loadcnt_dscnt 0x0
	v_mul_f64_e32 v[16:17], v[50:51], v[2:3]
	v_fma_f64 v[82:83], v[48:49], v[0:1], v[16:17]
	v_mul_f64_e32 v[0:1], v[50:51], v[0:1]
	s_delay_alu instid0(VALU_DEP_1) | instskip(SKIP_3) | instid1(VALU_DEP_2)
	v_fma_f64 v[80:81], v[48:49], v[2:3], -v[0:1]
	v_add_f64_e64 v[0:1], v[4:5], -v[8:9]
	v_add_f64_e64 v[2:3], v[20:21], -v[12:13]
	v_add_f64_e32 v[48:49], v[8:9], v[12:13]
	v_add_f64_e32 v[16:17], v[0:1], v[2:3]
	v_add_f64_e64 v[0:1], v[6:7], -v[10:11]
	v_add_f64_e64 v[2:3], v[22:23], -v[14:15]
	s_delay_alu instid0(VALU_DEP_1) | instskip(SKIP_4) | instid1(VALU_DEP_1)
	v_add_f64_e32 v[18:19], v[0:1], v[2:3]
	ds_load_b128 v[0:3], v220
	s_wait_dscnt 0x0
	v_fma_f64 v[56:57], v[48:49], -0.5, v[0:1]
	v_add_f64_e32 v[48:49], v[10:11], v[14:15]
	v_fma_f64 v[58:59], v[48:49], -0.5, v[2:3]
	s_delay_alu instid0(VALU_DEP_3) | instskip(SKIP_1) | instid1(VALU_DEP_3)
	v_fma_f64 v[48:49], v[60:61], s[10:11], v[56:57]
	v_fma_f64 v[56:57], v[60:61], s[12:13], v[56:57]
	;; [unrolled: 1-line block ×3, first 2 shown]
	s_delay_alu instid0(VALU_DEP_3) | instskip(SKIP_1) | instid1(VALU_DEP_3)
	v_fma_f64 v[48:49], v[62:63], s[0:1], v[48:49]
	s_wait_alu 0xfffe
	v_fma_f64 v[56:57], v[62:63], s[8:9], v[56:57]
	v_fma_f64 v[58:59], v[64:65], s[10:11], v[58:59]
	s_delay_alu instid0(VALU_DEP_4) | instskip(NEXT) | instid1(VALU_DEP_4)
	v_fma_f64 v[50:51], v[66:67], s[8:9], v[50:51]
	v_fma_f64 v[48:49], v[16:17], s[14:15], v[48:49]
	s_delay_alu instid0(VALU_DEP_4) | instskip(SKIP_3) | instid1(VALU_DEP_3)
	v_fma_f64 v[16:17], v[16:17], s[14:15], v[56:57]
	v_add_f64_e32 v[56:57], v[4:5], v[20:21]
	v_fma_f64 v[58:59], v[66:67], s[0:1], v[58:59]
	v_fma_f64 v[50:51], v[18:19], s[14:15], v[50:51]
	v_fma_f64 v[148:149], v[56:57], -0.5, v[0:1]
	v_add_f64_e32 v[56:57], v[6:7], v[22:23]
	v_add_f64_e32 v[0:1], v[0:1], v[4:5]
	v_fma_f64 v[18:19], v[18:19], s[14:15], v[58:59]
	v_add_f64_e64 v[4:5], v[8:9], -v[4:5]
	s_delay_alu instid0(VALU_DEP_4) | instskip(SKIP_4) | instid1(VALU_DEP_4)
	v_fma_f64 v[150:151], v[56:57], -0.5, v[2:3]
	v_add_f64_e32 v[2:3], v[2:3], v[6:7]
	v_add_f64_e32 v[0:1], v[0:1], v[8:9]
	v_add_f64_e64 v[6:7], v[10:11], -v[6:7]
	v_add_f64_e64 v[8:9], v[12:13], -v[20:21]
	v_add_f64_e32 v[2:3], v[2:3], v[10:11]
	s_delay_alu instid0(VALU_DEP_4)
	v_add_f64_e32 v[0:1], v[0:1], v[12:13]
	v_fma_f64 v[10:11], v[62:63], s[10:11], v[148:149]
	v_fma_f64 v[12:13], v[66:67], s[10:11], v[150:151]
	v_add_f64_e32 v[4:5], v[4:5], v[8:9]
	v_add_f64_e32 v[2:3], v[2:3], v[14:15]
	;; [unrolled: 1-line block ×3, first 2 shown]
	v_add_f64_e64 v[0:1], v[14:15], -v[22:23]
	v_fma_f64 v[14:15], v[66:67], s[12:13], v[150:151]
	v_fma_f64 v[8:9], v[64:65], s[8:9], v[12:13]
	v_add_f64_e64 v[12:13], v[30:31], -v[34:35]
	v_add_f64_e32 v[58:59], v[2:3], v[22:23]
	v_fma_f64 v[2:3], v[62:63], s[12:13], v[148:149]
	v_add_f64_e32 v[0:1], v[6:7], v[0:1]
	v_fma_f64 v[6:7], v[60:61], s[8:9], v[10:11]
	v_fma_f64 v[10:11], v[64:65], s[0:1], v[14:15]
	v_add_f64_e64 v[22:23], v[28:29], -v[32:33]
	v_add_f64_e64 v[14:15], v[26:27], -v[54:55]
	v_fma_f64 v[2:3], v[60:61], s[0:1], v[2:3]
	v_fma_f64 v[66:67], v[0:1], s[14:15], v[8:9]
	v_fma_f64 v[60:61], v[4:5], s[14:15], v[6:7]
	v_fma_f64 v[62:63], v[0:1], s[14:15], v[10:11]
	v_add_f64_e64 v[0:1], v[28:29], -v[24:25]
	v_add_f64_e32 v[8:9], v[24:25], v[52:53]
	v_add_f64_e32 v[10:11], v[26:27], v[54:55]
	v_fma_f64 v[64:65], v[4:5], s[14:15], v[2:3]
	v_add_f64_e64 v[2:3], v[32:33], -v[52:53]
	s_delay_alu instid0(VALU_DEP_1) | instskip(SKIP_2) | instid1(VALU_DEP_1)
	v_add_f64_e32 v[4:5], v[0:1], v[2:3]
	v_add_f64_e64 v[0:1], v[30:31], -v[26:27]
	v_add_f64_e64 v[2:3], v[34:35], -v[54:55]
	v_add_f64_e32 v[6:7], v[0:1], v[2:3]
	ds_load_b128 v[0:3], v220 offset:880
	s_wait_dscnt 0x0
	v_fma_f64 v[8:9], v[8:9], -0.5, v[0:1]
	v_fma_f64 v[10:11], v[10:11], -0.5, v[2:3]
	s_delay_alu instid0(VALU_DEP_2) | instskip(NEXT) | instid1(VALU_DEP_2)
	v_fma_f64 v[20:21], v[12:13], s[12:13], v[8:9]
	v_fma_f64 v[148:149], v[22:23], s[10:11], v[10:11]
	;; [unrolled: 1-line block ×4, first 2 shown]
	s_delay_alu instid0(VALU_DEP_4) | instskip(NEXT) | instid1(VALU_DEP_4)
	v_fma_f64 v[20:21], v[14:15], s[0:1], v[20:21]
	v_fma_f64 v[150:151], v[160:161], s[8:9], v[148:149]
	s_delay_alu instid0(VALU_DEP_4) | instskip(NEXT) | instid1(VALU_DEP_4)
	v_fma_f64 v[8:9], v[14:15], s[8:9], v[8:9]
	v_fma_f64 v[10:11], v[160:161], s[0:1], v[10:11]
	;; [unrolled: 3-line block ×4, first 2 shown]
	v_add_f64_e32 v[4:5], v[28:29], v[32:33]
	v_add_f64_e32 v[6:7], v[30:31], v[34:35]
	v_add_f64_e64 v[8:9], v[24:25], -v[28:29]
	s_delay_alu instid0(VALU_DEP_3) | instskip(NEXT) | instid1(VALU_DEP_3)
	v_fma_f64 v[4:5], v[4:5], -0.5, v[0:1]
	v_fma_f64 v[6:7], v[6:7], -0.5, v[2:3]
	v_add_f64_e32 v[0:1], v[0:1], v[24:25]
	v_add_f64_e32 v[2:3], v[2:3], v[26:27]
	v_add_f64_e64 v[24:25], v[132:133], -v[144:145]
	v_fma_f64 v[10:11], v[14:15], s[10:11], v[4:5]
	v_fma_f64 v[4:5], v[14:15], s[12:13], v[4:5]
	v_add_f64_e32 v[0:1], v[0:1], v[28:29]
	v_add_f64_e32 v[2:3], v[2:3], v[30:31]
	v_add_f64_e64 v[14:15], v[52:53], -v[32:33]
	v_fma_f64 v[20:21], v[160:161], s[12:13], v[6:7]
	v_fma_f64 v[6:7], v[160:161], s[10:11], v[6:7]
	v_add_f64_e64 v[28:29], v[142:143], -v[140:141]
	v_fma_f64 v[10:11], v[12:13], s[0:1], v[10:11]
	v_fma_f64 v[4:5], v[12:13], s[8:9], v[4:5]
	v_add_f64_e32 v[0:1], v[0:1], v[32:33]
	v_add_f64_e32 v[2:3], v[2:3], v[34:35]
	v_add_f64_e32 v[8:9], v[8:9], v[14:15]
	v_add_f64_e64 v[32:33], v[136:137], -v[142:143]
	v_fma_f64 v[6:7], v[22:23], s[0:1], v[6:7]
	v_add_f64_e32 v[156:157], v[0:1], v[52:53]
	v_add_f64_e32 v[158:159], v[2:3], v[54:55]
	v_add_f64_e64 v[0:1], v[26:27], -v[30:31]
	v_add_f64_e64 v[2:3], v[54:55], -v[34:35]
	v_fma_f64 v[160:161], v[8:9], s[14:15], v[10:11]
	v_fma_f64 v[164:165], v[8:9], s[14:15], v[4:5]
	v_add_f64_e64 v[30:31], v[136:137], -v[146:147]
	s_delay_alu instid0(VALU_DEP_4) | instskip(SKIP_2) | instid1(VALU_DEP_3)
	v_add_f64_e32 v[0:1], v[0:1], v[2:3]
	v_fma_f64 v[2:3], v[22:23], s[8:9], v[20:21]
	v_add_f64_e64 v[22:23], v[134:135], -v[138:139]
	v_fma_f64 v[166:167], v[0:1], s[14:15], v[6:7]
	s_delay_alu instid0(VALU_DEP_3)
	v_fma_f64 v[162:163], v[0:1], s[14:15], v[2:3]
	ds_load_b128 v[0:3], v220 offset:5280
	ds_load_b128 v[168:171], v220 offset:1760
	;; [unrolled: 1-line block ×5, first 2 shown]
	global_wb scope:SCOPE_SE
	s_wait_dscnt 0x0
	s_barrier_signal -1
	s_barrier_wait -1
	global_inv scope:SCOPE_SE
	ds_store_b128 v220, v[56:59]
	ds_store_b128 v220, v[48:51] offset:1232
	ds_store_b128 v220, v[64:67] offset:2464
	;; [unrolled: 1-line block ×4, first 2 shown]
	scratch_load_b32 v4, off, off offset:1432 th:TH_LOAD_LU ; 4-byte Folded Reload
	v_add_f64_e64 v[6:7], v[140:141], -v[146:147]
	v_add_f64_e64 v[16:17], v[138:139], -v[144:145]
	v_add_f64_e32 v[18:19], v[132:133], v[144:145]
	s_wait_loadcnt 0x0
	ds_store_b128 v4, v[156:159]
	ds_store_b128 v4, v[160:163] offset:1232
	ds_store_b128 v4, v[148:151] offset:2464
	;; [unrolled: 1-line block ×4, first 2 shown]
	v_add_f64_e64 v[4:5], v[142:143], -v[136:137]
	v_fma_f64 v[26:27], v[18:19], -0.5, v[170:171]
	s_delay_alu instid0(VALU_DEP_2) | instskip(SKIP_1) | instid1(VALU_DEP_3)
	v_add_f64_e32 v[4:5], v[4:5], v[6:7]
	v_add_f64_e64 v[6:7], v[134:135], -v[132:133]
	v_fma_f64 v[18:19], v[28:29], s[10:11], v[26:27]
	v_fma_f64 v[26:27], v[28:29], s[12:13], v[26:27]
	s_delay_alu instid0(VALU_DEP_3) | instskip(SKIP_1) | instid1(VALU_DEP_3)
	v_add_f64_e32 v[6:7], v[6:7], v[16:17]
	v_add_f64_e32 v[16:17], v[136:137], v[146:147]
	v_fma_f64 v[26:27], v[30:31], s[0:1], v[26:27]
	v_fma_f64 v[18:19], v[30:31], s[8:9], v[18:19]
	s_delay_alu instid0(VALU_DEP_3) | instskip(NEXT) | instid1(VALU_DEP_3)
	v_fma_f64 v[20:21], v[16:17], -0.5, v[168:169]
	v_fma_f64 v[50:51], v[6:7], s[14:15], v[26:27]
	v_add_f64_e32 v[26:27], v[170:171], v[132:133]
	s_delay_alu instid0(VALU_DEP_4) | instskip(SKIP_3) | instid1(VALU_DEP_3)
	v_fma_f64 v[18:19], v[6:7], s[14:15], v[18:19]
	v_add_f64_e32 v[6:7], v[134:135], v[138:139]
	v_fma_f64 v[16:17], v[22:23], s[12:13], v[20:21]
	v_fma_f64 v[20:21], v[22:23], s[10:11], v[20:21]
	v_fma_f64 v[6:7], v[6:7], -0.5, v[170:171]
	s_delay_alu instid0(VALU_DEP_3) | instskip(NEXT) | instid1(VALU_DEP_3)
	v_fma_f64 v[16:17], v[24:25], s[0:1], v[16:17]
	v_fma_f64 v[20:21], v[24:25], s[8:9], v[20:21]
	s_delay_alu instid0(VALU_DEP_3) | instskip(SKIP_1) | instid1(VALU_DEP_4)
	v_fma_f64 v[60:61], v[30:31], s[12:13], v[6:7]
	v_fma_f64 v[6:7], v[30:31], s[10:11], v[6:7]
	;; [unrolled: 1-line block ×3, first 2 shown]
	s_delay_alu instid0(VALU_DEP_4) | instskip(SKIP_3) | instid1(VALU_DEP_3)
	v_fma_f64 v[48:49], v[4:5], s[14:15], v[20:21]
	v_add_f64_e32 v[4:5], v[142:143], v[140:141]
	v_add_f64_e32 v[20:21], v[168:169], v[136:137]
	v_fma_f64 v[6:7], v[28:29], s[0:1], v[6:7]
	v_fma_f64 v[4:5], v[4:5], -0.5, v[168:169]
	s_delay_alu instid0(VALU_DEP_3) | instskip(NEXT) | instid1(VALU_DEP_2)
	v_add_f64_e32 v[20:21], v[20:21], v[142:143]
	v_fma_f64 v[34:35], v[24:25], s[10:11], v[4:5]
	v_fma_f64 v[4:5], v[24:25], s[12:13], v[4:5]
	v_add_f64_e32 v[24:25], v[26:27], v[134:135]
	v_add_f64_e64 v[26:27], v[146:147], -v[140:141]
	v_add_f64_e32 v[20:21], v[20:21], v[140:141]
	v_fma_f64 v[30:31], v[22:23], s[0:1], v[34:35]
	v_fma_f64 v[4:5], v[22:23], s[8:9], v[4:5]
	v_add_f64_e32 v[24:25], v[24:25], v[138:139]
	v_add_f64_e32 v[26:27], v[32:33], v[26:27]
	;; [unrolled: 1-line block ×3, first 2 shown]
	v_add_f64_e64 v[20:21], v[132:133], -v[134:135]
	v_fma_f64 v[22:23], v[28:29], s[8:9], v[60:61]
	v_add_f64_e64 v[28:29], v[124:125], -v[126:127]
	v_add_f64_e64 v[32:33], v[120:121], -v[124:125]
	v_add_f64_e32 v[58:59], v[24:25], v[144:145]
	v_fma_f64 v[64:65], v[26:27], s[14:15], v[4:5]
	scratch_load_b32 v4, off, off offset:1340 th:TH_LOAD_LU ; 4-byte Folded Reload
	v_add_f64_e64 v[24:25], v[144:145], -v[138:139]
	v_fma_f64 v[60:61], v[26:27], s[14:15], v[30:31]
	v_add_f64_e64 v[30:31], v[120:121], -v[130:131]
	s_delay_alu instid0(VALU_DEP_3) | instskip(SKIP_1) | instid1(VALU_DEP_2)
	v_add_f64_e32 v[20:21], v[20:21], v[24:25]
	v_add_f64_e64 v[24:25], v[116:117], -v[128:129]
	v_fma_f64 v[62:63], v[20:21], s[14:15], v[22:23]
	v_fma_f64 v[66:67], v[20:21], s[14:15], v[6:7]
	v_add_f64_e64 v[6:7], v[126:127], -v[130:131]
	v_add_f64_e64 v[22:23], v[118:119], -v[122:123]
	s_wait_loadcnt 0x0
	ds_store_b128 v4, v[56:59]
	ds_store_b128 v4, v[60:63] offset:1232
	ds_store_b128 v4, v[16:19] offset:2464
	;; [unrolled: 1-line block ×4, first 2 shown]
	v_add_f64_e64 v[4:5], v[124:125], -v[120:121]
	v_add_f64_e64 v[16:17], v[122:123], -v[128:129]
	v_add_f64_e32 v[18:19], v[116:117], v[128:129]
	s_delay_alu instid0(VALU_DEP_3) | instskip(SKIP_1) | instid1(VALU_DEP_3)
	v_add_f64_e32 v[4:5], v[4:5], v[6:7]
	v_add_f64_e64 v[6:7], v[118:119], -v[116:117]
	v_fma_f64 v[26:27], v[18:19], -0.5, v[54:55]
	s_delay_alu instid0(VALU_DEP_2) | instskip(SKIP_1) | instid1(VALU_DEP_3)
	v_add_f64_e32 v[6:7], v[6:7], v[16:17]
	v_add_f64_e32 v[16:17], v[120:121], v[130:131]
	v_fma_f64 v[18:19], v[28:29], s[10:11], v[26:27]
	v_fma_f64 v[26:27], v[28:29], s[12:13], v[26:27]
	s_delay_alu instid0(VALU_DEP_3) | instskip(NEXT) | instid1(VALU_DEP_3)
	v_fma_f64 v[20:21], v[16:17], -0.5, v[52:53]
	v_fma_f64 v[18:19], v[30:31], s[8:9], v[18:19]
	s_delay_alu instid0(VALU_DEP_3) | instskip(NEXT) | instid1(VALU_DEP_3)
	v_fma_f64 v[26:27], v[30:31], s[0:1], v[26:27]
	v_fma_f64 v[16:17], v[22:23], s[12:13], v[20:21]
	;; [unrolled: 1-line block ×3, first 2 shown]
	s_delay_alu instid0(VALU_DEP_3)
	v_fma_f64 v[50:51], v[6:7], s[14:15], v[26:27]
	v_add_f64_e32 v[26:27], v[54:55], v[116:117]
	v_fma_f64 v[18:19], v[6:7], s[14:15], v[18:19]
	v_add_f64_e32 v[6:7], v[118:119], v[122:123]
	v_fma_f64 v[16:17], v[24:25], s[0:1], v[16:17]
	v_fma_f64 v[20:21], v[24:25], s[8:9], v[20:21]
	s_delay_alu instid0(VALU_DEP_3) | instskip(NEXT) | instid1(VALU_DEP_3)
	v_fma_f64 v[6:7], v[6:7], -0.5, v[54:55]
	v_fma_f64 v[16:17], v[4:5], s[14:15], v[16:17]
	s_delay_alu instid0(VALU_DEP_3) | instskip(SKIP_4) | instid1(VALU_DEP_4)
	v_fma_f64 v[48:49], v[4:5], s[14:15], v[20:21]
	v_add_f64_e32 v[4:5], v[124:125], v[126:127]
	v_add_f64_e32 v[20:21], v[52:53], v[120:121]
	v_fma_f64 v[56:57], v[30:31], s[12:13], v[6:7]
	v_fma_f64 v[6:7], v[30:31], s[10:11], v[6:7]
	v_fma_f64 v[4:5], v[4:5], -0.5, v[52:53]
	s_delay_alu instid0(VALU_DEP_4) | instskip(NEXT) | instid1(VALU_DEP_3)
	v_add_f64_e32 v[20:21], v[20:21], v[124:125]
	v_fma_f64 v[6:7], v[28:29], s[0:1], v[6:7]
	s_delay_alu instid0(VALU_DEP_3)
	v_fma_f64 v[34:35], v[24:25], s[10:11], v[4:5]
	v_fma_f64 v[4:5], v[24:25], s[12:13], v[4:5]
	v_add_f64_e32 v[24:25], v[26:27], v[118:119]
	v_add_f64_e64 v[26:27], v[130:131], -v[126:127]
	v_add_f64_e32 v[20:21], v[20:21], v[126:127]
	v_fma_f64 v[30:31], v[22:23], s[0:1], v[34:35]
	v_fma_f64 v[4:5], v[22:23], s[8:9], v[4:5]
	v_add_f64_e32 v[24:25], v[24:25], v[122:123]
	v_add_f64_e32 v[26:27], v[32:33], v[26:27]
	v_add_f64_e32 v[52:53], v[20:21], v[130:131]
	v_add_f64_e64 v[20:21], v[116:117], -v[118:119]
	v_fma_f64 v[22:23], v[28:29], s[8:9], v[56:57]
	v_add_f64_e64 v[28:29], v[110:111], -v[108:109]
	v_add_f64_e64 v[32:33], v[100:101], -v[102:103]
	;; [unrolled: 1-line block ×3, first 2 shown]
	v_add_f64_e32 v[54:55], v[24:25], v[128:129]
	v_fma_f64 v[60:61], v[26:27], s[14:15], v[4:5]
	scratch_load_b32 v4, off, off offset:1288 th:TH_LOAD_LU ; 4-byte Folded Reload
	v_add_f64_e64 v[24:25], v[128:129], -v[122:123]
	v_fma_f64 v[56:57], v[26:27], s[14:15], v[30:31]
	v_add_f64_e64 v[30:31], v[104:105], -v[114:115]
	s_delay_alu instid0(VALU_DEP_3) | instskip(SKIP_1) | instid1(VALU_DEP_2)
	v_add_f64_e32 v[20:21], v[20:21], v[24:25]
	v_add_f64_e64 v[24:25], v[100:101], -v[112:113]
	v_fma_f64 v[58:59], v[20:21], s[14:15], v[22:23]
	v_fma_f64 v[62:63], v[20:21], s[14:15], v[6:7]
	v_add_f64_e64 v[6:7], v[108:109], -v[114:115]
	v_add_f64_e64 v[22:23], v[102:103], -v[106:107]
	s_wait_loadcnt 0x0
	ds_store_b128 v4, v[52:55] offset:12320
	ds_store_b128 v4, v[56:59] offset:13552
	;; [unrolled: 1-line block ×5, first 2 shown]
	v_add_f64_e64 v[4:5], v[110:111], -v[104:105]
	v_add_f64_e64 v[16:17], v[106:107], -v[112:113]
	v_add_f64_e32 v[18:19], v[100:101], v[112:113]
	s_delay_alu instid0(VALU_DEP_3) | instskip(SKIP_1) | instid1(VALU_DEP_3)
	v_add_f64_e32 v[4:5], v[4:5], v[6:7]
	v_add_f64_e64 v[6:7], v[102:103], -v[100:101]
	v_fma_f64 v[26:27], v[18:19], -0.5, v[14:15]
	s_delay_alu instid0(VALU_DEP_2) | instskip(SKIP_1) | instid1(VALU_DEP_3)
	v_add_f64_e32 v[6:7], v[6:7], v[16:17]
	v_add_f64_e32 v[16:17], v[104:105], v[114:115]
	v_fma_f64 v[18:19], v[28:29], s[10:11], v[26:27]
	v_fma_f64 v[26:27], v[28:29], s[12:13], v[26:27]
	s_delay_alu instid0(VALU_DEP_3) | instskip(NEXT) | instid1(VALU_DEP_3)
	v_fma_f64 v[20:21], v[16:17], -0.5, v[12:13]
	v_fma_f64 v[18:19], v[30:31], s[8:9], v[18:19]
	s_delay_alu instid0(VALU_DEP_3) | instskip(NEXT) | instid1(VALU_DEP_3)
	v_fma_f64 v[26:27], v[30:31], s[0:1], v[26:27]
	v_fma_f64 v[16:17], v[22:23], s[12:13], v[20:21]
	;; [unrolled: 1-line block ×3, first 2 shown]
	s_delay_alu instid0(VALU_DEP_3) | instskip(SKIP_4) | instid1(VALU_DEP_3)
	v_fma_f64 v[50:51], v[6:7], s[14:15], v[26:27]
	v_fma_f64 v[18:19], v[6:7], s[14:15], v[18:19]
	v_add_f64_e32 v[6:7], v[102:103], v[106:107]
	v_fma_f64 v[16:17], v[24:25], s[0:1], v[16:17]
	v_fma_f64 v[20:21], v[24:25], s[8:9], v[20:21]
	v_fma_f64 v[6:7], v[6:7], -0.5, v[14:15]
	v_add_f64_e32 v[14:15], v[14:15], v[100:101]
	s_delay_alu instid0(VALU_DEP_4) | instskip(NEXT) | instid1(VALU_DEP_4)
	v_fma_f64 v[16:17], v[4:5], s[14:15], v[16:17]
	v_fma_f64 v[48:49], v[4:5], s[14:15], v[20:21]
	v_add_f64_e32 v[4:5], v[110:111], v[108:109]
	v_add_f64_e64 v[20:21], v[104:105], -v[110:111]
	v_fma_f64 v[52:53], v[30:31], s[12:13], v[6:7]
	v_add_f64_e32 v[14:15], v[14:15], v[102:103]
	v_fma_f64 v[6:7], v[30:31], s[10:11], v[6:7]
	v_fma_f64 v[4:5], v[4:5], -0.5, v[12:13]
	v_add_f64_e32 v[12:13], v[12:13], v[104:105]
	s_delay_alu instid0(VALU_DEP_4) | instskip(NEXT) | instid1(VALU_DEP_4)
	v_add_f64_e32 v[14:15], v[14:15], v[106:107]
	v_fma_f64 v[6:7], v[28:29], s[0:1], v[6:7]
	s_delay_alu instid0(VALU_DEP_4) | instskip(SKIP_4) | instid1(VALU_DEP_4)
	v_fma_f64 v[26:27], v[24:25], s[10:11], v[4:5]
	v_fma_f64 v[4:5], v[24:25], s[12:13], v[4:5]
	v_add_f64_e64 v[24:25], v[114:115], -v[108:109]
	v_add_f64_e32 v[12:13], v[12:13], v[110:111]
	v_add_f64_e32 v[14:15], v[14:15], v[112:113]
	v_fma_f64 v[4:5], v[22:23], s[8:9], v[4:5]
	s_delay_alu instid0(VALU_DEP_4) | instskip(NEXT) | instid1(VALU_DEP_4)
	v_add_f64_e32 v[20:21], v[20:21], v[24:25]
	v_add_f64_e32 v[12:13], v[12:13], v[108:109]
	v_fma_f64 v[24:25], v[22:23], s[0:1], v[26:27]
	v_add_f64_e32 v[22:23], v[32:33], v[34:35]
	v_fma_f64 v[26:27], v[28:29], s[8:9], v[52:53]
	v_add_f64_e64 v[28:29], v[88:89], -v[92:93]
	v_add_f64_e64 v[32:33], v[84:85], -v[86:87]
	;; [unrolled: 1-line block ×3, first 2 shown]
	v_fma_f64 v[56:57], v[20:21], s[14:15], v[4:5]
	scratch_load_b32 v4, off, off offset:1260 th:TH_LOAD_LU ; 4-byte Folded Reload
	v_add_f64_e32 v[12:13], v[12:13], v[114:115]
	v_fma_f64 v[52:53], v[20:21], s[14:15], v[24:25]
	v_fma_f64 v[54:55], v[22:23], s[14:15], v[26:27]
	;; [unrolled: 1-line block ×3, first 2 shown]
	v_add_f64_e64 v[6:7], v[94:95], -v[98:99]
	v_add_f64_e64 v[20:21], v[86:87], -v[90:91]
	;; [unrolled: 1-line block ×5, first 2 shown]
	s_wait_loadcnt 0x0
	ds_store_b128 v4, v[12:15]
	ds_store_b128 v4, v[52:55] offset:1232
	ds_store_b128 v4, v[16:19] offset:2464
	ds_store_b128 v4, v[48:51] offset:3696
	ds_store_b128 v4, v[56:59] offset:4928
	v_add_f64_e64 v[4:5], v[92:93], -v[88:89]
	v_add_f64_e64 v[12:13], v[90:91], -v[96:97]
	v_add_f64_e32 v[14:15], v[84:85], v[96:97]
	s_delay_alu instid0(VALU_DEP_3) | instskip(SKIP_1) | instid1(VALU_DEP_3)
	v_add_f64_e32 v[4:5], v[4:5], v[6:7]
	v_add_f64_e64 v[6:7], v[86:87], -v[84:85]
	v_fma_f64 v[18:19], v[14:15], -0.5, v[10:11]
	s_delay_alu instid0(VALU_DEP_2) | instskip(SKIP_1) | instid1(VALU_DEP_3)
	v_add_f64_e32 v[6:7], v[6:7], v[12:13]
	v_add_f64_e32 v[12:13], v[88:89], v[98:99]
	v_fma_f64 v[14:15], v[24:25], s[10:11], v[18:19]
	v_fma_f64 v[18:19], v[24:25], s[12:13], v[18:19]
	s_delay_alu instid0(VALU_DEP_3) | instskip(NEXT) | instid1(VALU_DEP_3)
	v_fma_f64 v[16:17], v[12:13], -0.5, v[8:9]
	v_fma_f64 v[14:15], v[26:27], s[8:9], v[14:15]
	s_delay_alu instid0(VALU_DEP_3) | instskip(NEXT) | instid1(VALU_DEP_3)
	v_fma_f64 v[18:19], v[26:27], s[0:1], v[18:19]
	v_fma_f64 v[12:13], v[20:21], s[12:13], v[16:17]
	;; [unrolled: 1-line block ×3, first 2 shown]
	s_delay_alu instid0(VALU_DEP_4) | instskip(NEXT) | instid1(VALU_DEP_4)
	v_fma_f64 v[14:15], v[6:7], s[14:15], v[14:15]
	v_fma_f64 v[18:19], v[6:7], s[14:15], v[18:19]
	v_add_f64_e32 v[6:7], v[86:87], v[90:91]
	v_fma_f64 v[12:13], v[22:23], s[0:1], v[12:13]
	v_fma_f64 v[16:17], v[22:23], s[8:9], v[16:17]
	s_delay_alu instid0(VALU_DEP_3) | instskip(SKIP_1) | instid1(VALU_DEP_4)
	v_fma_f64 v[6:7], v[6:7], -0.5, v[10:11]
	v_add_f64_e32 v[10:11], v[10:11], v[84:85]
	v_fma_f64 v[12:13], v[4:5], s[14:15], v[12:13]
	s_delay_alu instid0(VALU_DEP_4) | instskip(SKIP_4) | instid1(VALU_DEP_4)
	v_fma_f64 v[16:17], v[4:5], s[14:15], v[16:17]
	v_add_f64_e32 v[4:5], v[92:93], v[94:95]
	v_fma_f64 v[48:49], v[26:27], s[12:13], v[6:7]
	v_add_f64_e32 v[10:11], v[10:11], v[86:87]
	v_fma_f64 v[6:7], v[26:27], s[10:11], v[6:7]
	v_fma_f64 v[4:5], v[4:5], -0.5, v[8:9]
	v_add_f64_e32 v[8:9], v[8:9], v[88:89]
	s_delay_alu instid0(VALU_DEP_4) | instskip(NEXT) | instid1(VALU_DEP_4)
	v_add_f64_e32 v[10:11], v[10:11], v[90:91]
	v_fma_f64 v[6:7], v[24:25], s[0:1], v[6:7]
	s_delay_alu instid0(VALU_DEP_4)
	v_fma_f64 v[30:31], v[22:23], s[10:11], v[4:5]
	v_fma_f64 v[4:5], v[22:23], s[12:13], v[4:5]
	v_add_f64_e64 v[22:23], v[98:99], -v[94:95]
	v_add_f64_e32 v[8:9], v[8:9], v[92:93]
	v_add_f64_e32 v[10:11], v[10:11], v[96:97]
	v_fma_f64 v[26:27], v[20:21], s[0:1], v[30:31]
	v_fma_f64 v[4:5], v[20:21], s[8:9], v[4:5]
	v_add_f64_e32 v[22:23], v[28:29], v[22:23]
	v_add_f64_e32 v[8:9], v[8:9], v[94:95]
	;; [unrolled: 1-line block ×3, first 2 shown]
	v_fma_f64 v[28:29], v[24:25], s[8:9], v[48:49]
	v_add_f64_e64 v[24:25], v[72:73], -v[78:79]
	v_add_f64_e64 v[30:31], v[80:81], -v[74:75]
	v_fma_f64 v[52:53], v[22:23], s[14:15], v[4:5]
	scratch_load_b32 v4, off, off offset:1252 th:TH_LOAD_LU ; 4-byte Folded Reload
	v_add_f64_e32 v[8:9], v[8:9], v[98:99]
	v_fma_f64 v[48:49], v[22:23], s[14:15], v[26:27]
	v_fma_f64 v[50:51], v[20:21], s[14:15], v[28:29]
	v_fma_f64 v[54:55], v[20:21], s[14:15], v[6:7]
	v_add_f64_e64 v[6:7], v[76:77], -v[82:83]
	v_add_f64_e64 v[20:21], v[78:79], -v[76:77]
	;; [unrolled: 1-line block ×4, first 2 shown]
	s_wait_loadcnt 0x0
	ds_store_b128 v4, v[8:11]
	ds_store_b128 v4, v[48:51] offset:1232
	ds_store_b128 v4, v[12:15] offset:2464
	ds_store_b128 v4, v[16:19] offset:3696
	ds_store_b128 v4, v[52:55] offset:4928
	v_add_f64_e64 v[4:5], v[78:79], -v[72:73]
	v_add_f64_e64 v[8:9], v[74:75], -v[80:81]
	;; [unrolled: 1-line block ×3, first 2 shown]
	v_add_f64_e32 v[10:11], v[68:69], v[80:81]
	v_add_f64_e64 v[18:19], v[68:69], -v[80:81]
	v_add_f64_e32 v[4:5], v[4:5], v[6:7]
	v_add_f64_e64 v[6:7], v[70:71], -v[68:69]
	s_delay_alu instid0(VALU_DEP_4) | instskip(NEXT) | instid1(VALU_DEP_2)
	v_fma_f64 v[14:15], v[10:11], -0.5, v[2:3]
	v_add_f64_e32 v[6:7], v[6:7], v[8:9]
	v_add_f64_e32 v[8:9], v[72:73], v[82:83]
	s_delay_alu instid0(VALU_DEP_3) | instskip(SKIP_1) | instid1(VALU_DEP_3)
	v_fma_f64 v[10:11], v[20:21], s[10:11], v[14:15]
	v_fma_f64 v[14:15], v[20:21], s[12:13], v[14:15]
	v_fma_f64 v[12:13], v[8:9], -0.5, v[0:1]
	s_delay_alu instid0(VALU_DEP_3) | instskip(NEXT) | instid1(VALU_DEP_3)
	v_fma_f64 v[10:11], v[22:23], s[8:9], v[10:11]
	v_fma_f64 v[14:15], v[22:23], s[0:1], v[14:15]
	s_delay_alu instid0(VALU_DEP_3) | instskip(SKIP_1) | instid1(VALU_DEP_4)
	v_fma_f64 v[8:9], v[16:17], s[12:13], v[12:13]
	v_fma_f64 v[12:13], v[16:17], s[10:11], v[12:13]
	;; [unrolled: 1-line block ×3, first 2 shown]
	s_delay_alu instid0(VALU_DEP_4) | instskip(SKIP_3) | instid1(VALU_DEP_3)
	v_fma_f64 v[14:15], v[6:7], s[14:15], v[14:15]
	v_add_f64_e32 v[6:7], v[70:71], v[74:75]
	v_fma_f64 v[8:9], v[18:19], s[0:1], v[8:9]
	v_fma_f64 v[12:13], v[18:19], s[8:9], v[12:13]
	v_fma_f64 v[6:7], v[6:7], -0.5, v[2:3]
	v_add_f64_e32 v[2:3], v[2:3], v[68:69]
	s_delay_alu instid0(VALU_DEP_4) | instskip(NEXT) | instid1(VALU_DEP_4)
	v_fma_f64 v[8:9], v[4:5], s[14:15], v[8:9]
	v_fma_f64 v[12:13], v[4:5], s[14:15], v[12:13]
	v_add_f64_e32 v[4:5], v[78:79], v[76:77]
	v_fma_f64 v[32:33], v[22:23], s[12:13], v[6:7]
	v_fma_f64 v[6:7], v[22:23], s[10:11], v[6:7]
	v_add_f64_e32 v[2:3], v[2:3], v[70:71]
	s_delay_alu instid0(VALU_DEP_4) | instskip(SKIP_1) | instid1(VALU_DEP_4)
	v_fma_f64 v[4:5], v[4:5], -0.5, v[0:1]
	v_add_f64_e32 v[0:1], v[0:1], v[72:73]
	v_fma_f64 v[6:7], v[20:21], s[0:1], v[6:7]
	s_delay_alu instid0(VALU_DEP_4) | instskip(NEXT) | instid1(VALU_DEP_4)
	v_add_f64_e32 v[2:3], v[2:3], v[74:75]
	v_fma_f64 v[26:27], v[18:19], s[10:11], v[4:5]
	v_fma_f64 v[4:5], v[18:19], s[12:13], v[4:5]
	v_add_f64_e64 v[18:19], v[82:83], -v[76:77]
	v_add_f64_e32 v[0:1], v[0:1], v[78:79]
	v_add_f64_e32 v[2:3], v[2:3], v[80:81]
	s_delay_alu instid0(VALU_DEP_4) | instskip(NEXT) | instid1(VALU_DEP_4)
	v_fma_f64 v[4:5], v[16:17], s[8:9], v[4:5]
	v_add_f64_e32 v[22:23], v[24:25], v[18:19]
	s_delay_alu instid0(VALU_DEP_4)
	v_add_f64_e32 v[0:1], v[0:1], v[76:77]
	v_fma_f64 v[18:19], v[16:17], s[0:1], v[26:27]
	v_add_f64_e32 v[24:25], v[28:29], v[30:31]
	v_fma_f64 v[26:27], v[20:21], s[8:9], v[32:33]
	v_fma_f64 v[48:49], v[22:23], s[14:15], v[4:5]
	scratch_load_b32 v4, off, off offset:1048 th:TH_LOAD_LU ; 4-byte Folded Reload
	v_add_f64_e32 v[0:1], v[0:1], v[82:83]
	v_fma_f64 v[16:17], v[22:23], s[14:15], v[18:19]
	v_fma_f64 v[18:19], v[24:25], s[14:15], v[26:27]
	;; [unrolled: 1-line block ×3, first 2 shown]
	s_wait_loadcnt 0x0
	ds_store_b128 v4, v[0:3] offset:24640
	ds_store_b128 v4, v[16:19] offset:25872
	;; [unrolled: 1-line block ×5, first 2 shown]
	global_wb scope:SCOPE_SE
	s_wait_dscnt 0x0
	s_barrier_signal -1
	s_barrier_wait -1
	global_inv scope:SCOPE_SE
	scratch_load_b128 v[6:9], off, off offset:1184 th:TH_LOAD_LU ; 16-byte Folded Reload
	ds_load_b128 v[0:3], v220 offset:6160
	s_wait_loadcnt_dscnt 0x0
	v_mul_f64_e32 v[4:5], v[8:9], v[2:3]
	s_delay_alu instid0(VALU_DEP_1) | instskip(SKIP_1) | instid1(VALU_DEP_1)
	v_fma_f64 v[12:13], v[6:7], v[0:1], v[4:5]
	v_mul_f64_e32 v[0:1], v[8:9], v[0:1]
	v_fma_f64 v[14:15], v[6:7], v[2:3], -v[0:1]
	scratch_load_b128 v[6:9], off, off offset:1384 th:TH_LOAD_LU ; 16-byte Folded Reload
	ds_load_b128 v[0:3], v220 offset:12320
	s_wait_loadcnt_dscnt 0x0
	v_mul_f64_e32 v[4:5], v[8:9], v[2:3]
	s_delay_alu instid0(VALU_DEP_1) | instskip(SKIP_1) | instid1(VALU_DEP_1)
	v_fma_f64 v[16:17], v[6:7], v[0:1], v[4:5]
	v_mul_f64_e32 v[0:1], v[8:9], v[0:1]
	v_fma_f64 v[20:21], v[6:7], v[2:3], -v[0:1]
	;; [unrolled: 8-line block ×4, first 2 shown]
	scratch_load_b128 v[6:9], off, off offset:1436 th:TH_LOAD_LU ; 16-byte Folded Reload
	ds_load_b128 v[0:3], v220 offset:7040
	v_add_f64_e64 v[30:31], v[14:15], -v[26:27]
	s_wait_loadcnt_dscnt 0x0
	v_mul_f64_e32 v[4:5], v[8:9], v[2:3]
	s_delay_alu instid0(VALU_DEP_1) | instskip(SKIP_1) | instid1(VALU_DEP_1)
	v_fma_f64 v[32:33], v[6:7], v[0:1], v[4:5]
	v_mul_f64_e32 v[0:1], v[8:9], v[0:1]
	v_fma_f64 v[48:49], v[6:7], v[2:3], -v[0:1]
	scratch_load_b128 v[6:9], off, off offset:1484 th:TH_LOAD_LU ; 16-byte Folded Reload
	ds_load_b128 v[0:3], v220 offset:13200
	s_wait_loadcnt_dscnt 0x0
	v_mul_f64_e32 v[4:5], v[8:9], v[2:3]
	s_delay_alu instid0(VALU_DEP_1) | instskip(SKIP_1) | instid1(VALU_DEP_2)
	v_fma_f64 v[34:35], v[6:7], v[0:1], v[4:5]
	v_mul_f64_e32 v[0:1], v[8:9], v[0:1]
	v_add_f64_e64 v[140:141], v[34:35], -v[32:33]
	s_delay_alu instid0(VALU_DEP_2) | instskip(SKIP_4) | instid1(VALU_DEP_1)
	v_fma_f64 v[50:51], v[6:7], v[2:3], -v[0:1]
	scratch_load_b128 v[6:9], off, off offset:1516 th:TH_LOAD_LU ; 16-byte Folded Reload
	ds_load_b128 v[0:3], v220 offset:19360
	s_wait_loadcnt_dscnt 0x0
	v_mul_f64_e32 v[4:5], v[8:9], v[2:3]
	v_fma_f64 v[52:53], v[6:7], v[0:1], v[4:5]
	v_mul_f64_e32 v[0:1], v[8:9], v[0:1]
	s_delay_alu instid0(VALU_DEP_1) | instskip(SKIP_4) | instid1(VALU_DEP_1)
	v_fma_f64 v[54:55], v[6:7], v[2:3], -v[0:1]
	scratch_load_b128 v[6:9], off, off offset:1532 th:TH_LOAD_LU ; 16-byte Folded Reload
	ds_load_b128 v[0:3], v220 offset:25520
	s_wait_loadcnt_dscnt 0x0
	v_mul_f64_e32 v[4:5], v[8:9], v[2:3]
	v_fma_f64 v[56:57], v[6:7], v[0:1], v[4:5]
	v_mul_f64_e32 v[0:1], v[8:9], v[0:1]
	s_delay_alu instid0(VALU_DEP_1) | instskip(SKIP_4) | instid1(VALU_DEP_1)
	;; [unrolled: 8-line block ×8, first 2 shown]
	v_fma_f64 v[114:115], v[6:7], v[2:3], -v[0:1]
	scratch_load_b128 v[6:9], off, off offset:1660 th:TH_LOAD_LU ; 16-byte Folded Reload
	ds_load_b128 v[0:3], v220 offset:21120
	s_wait_loadcnt_dscnt 0x0
	v_mul_f64_e32 v[4:5], v[8:9], v[2:3]
	v_fma_f64 v[122:123], v[6:7], v[0:1], v[4:5]
	v_mul_f64_e32 v[0:1], v[8:9], v[0:1]
	s_delay_alu instid0(VALU_DEP_2) | instskip(NEXT) | instid1(VALU_DEP_2)
	v_add_f64_e64 v[146:147], v[120:121], -v[122:123]
	v_fma_f64 v[118:119], v[6:7], v[2:3], -v[0:1]
	scratch_load_b128 v[6:9], off, off offset:1708 th:TH_LOAD_LU ; 16-byte Folded Reload
	ds_load_b128 v[0:3], v220 offset:27280
	s_wait_loadcnt_dscnt 0x0
	v_mul_f64_e32 v[4:5], v[8:9], v[2:3]
	s_delay_alu instid0(VALU_DEP_1) | instskip(SKIP_1) | instid1(VALU_DEP_2)
	v_fma_f64 v[138:139], v[6:7], v[0:1], v[4:5]
	v_mul_f64_e32 v[0:1], v[8:9], v[0:1]
	v_add_f64_e64 v[144:145], v[116:117], -v[138:139]
	s_delay_alu instid0(VALU_DEP_2) | instskip(SKIP_4) | instid1(VALU_DEP_1)
	v_fma_f64 v[124:125], v[6:7], v[2:3], -v[0:1]
	scratch_load_b128 v[6:9], off, off offset:1740 th:TH_LOAD_LU ; 16-byte Folded Reload
	ds_load_b128 v[0:3], v220 offset:9680
	s_wait_loadcnt_dscnt 0x0
	v_mul_f64_e32 v[4:5], v[8:9], v[2:3]
	v_fma_f64 v[100:101], v[6:7], v[0:1], v[4:5]
	v_mul_f64_e32 v[0:1], v[8:9], v[0:1]
	s_delay_alu instid0(VALU_DEP_1) | instskip(SKIP_4) | instid1(VALU_DEP_1)
	v_fma_f64 v[96:97], v[6:7], v[2:3], -v[0:1]
	scratch_load_b128 v[6:9], off, off offset:1868 th:TH_LOAD_LU ; 16-byte Folded Reload
	ds_load_b128 v[0:3], v220 offset:15840
	s_wait_loadcnt_dscnt 0x0
	v_mul_f64_e32 v[4:5], v[8:9], v[2:3]
	v_fma_f64 v[106:107], v[6:7], v[0:1], v[4:5]
	v_mul_f64_e32 v[0:1], v[8:9], v[0:1]
	s_delay_alu instid0(VALU_DEP_1) | instskip(SKIP_4) | instid1(VALU_DEP_1)
	v_fma_f64 v[98:99], v[6:7], v[2:3], -v[0:1]
	scratch_load_b128 v[6:9], off, off offset:1900 th:TH_LOAD_LU ; 16-byte Folded Reload
	ds_load_b128 v[0:3], v220 offset:22000
	s_wait_loadcnt_dscnt 0x0
	v_mul_f64_e32 v[4:5], v[8:9], v[2:3]
	v_fma_f64 v[104:105], v[6:7], v[0:1], v[4:5]
	v_mul_f64_e32 v[0:1], v[8:9], v[0:1]
	s_delay_alu instid0(VALU_DEP_2) | instskip(NEXT) | instid1(VALU_DEP_2)
	v_add_f64_e64 v[150:151], v[106:107], -v[104:105]
	v_fma_f64 v[102:103], v[6:7], v[2:3], -v[0:1]
	scratch_load_b128 v[6:9], off, off offset:1884 th:TH_LOAD_LU ; 16-byte Folded Reload
	ds_load_b128 v[0:3], v220 offset:28160
	s_wait_loadcnt_dscnt 0x0
	v_mul_f64_e32 v[4:5], v[8:9], v[2:3]
	s_delay_alu instid0(VALU_DEP_1) | instskip(SKIP_1) | instid1(VALU_DEP_1)
	v_fma_f64 v[110:111], v[6:7], v[0:1], v[4:5]
	v_mul_f64_e32 v[0:1], v[8:9], v[0:1]
	v_fma_f64 v[108:109], v[6:7], v[2:3], -v[0:1]
	scratch_load_b128 v[6:9], off, off offset:1980 th:TH_LOAD_LU ; 16-byte Folded Reload
	ds_load_b128 v[0:3], v220 offset:10560
	s_wait_loadcnt_dscnt 0x0
	v_mul_f64_e32 v[4:5], v[8:9], v[2:3]
	s_delay_alu instid0(VALU_DEP_1) | instskip(SKIP_1) | instid1(VALU_DEP_1)
	v_fma_f64 v[84:85], v[6:7], v[0:1], v[4:5]
	v_mul_f64_e32 v[0:1], v[8:9], v[0:1]
	;; [unrolled: 8-line block ×3, first 2 shown]
	v_fma_f64 v[82:83], v[6:7], v[2:3], -v[0:1]
	scratch_load_b128 v[6:9], off, off offset:2044 th:TH_LOAD_LU ; 16-byte Folded Reload
	ds_load_b128 v[0:3], v220 offset:22880
	s_wait_loadcnt_dscnt 0x0
	v_mul_f64_e32 v[4:5], v[8:9], v[2:3]
	s_delay_alu instid0(VALU_DEP_1) | instskip(SKIP_1) | instid1(VALU_DEP_2)
	v_fma_f64 v[90:91], v[6:7], v[0:1], v[4:5]
	v_mul_f64_e32 v[0:1], v[8:9], v[0:1]
	v_add_f64_e64 v[154:155], v[88:89], -v[90:91]
	s_delay_alu instid0(VALU_DEP_2) | instskip(SKIP_4) | instid1(VALU_DEP_1)
	v_fma_f64 v[86:87], v[6:7], v[2:3], -v[0:1]
	scratch_load_b128 v[6:9], off, off offset:2076 th:TH_LOAD_LU ; 16-byte Folded Reload
	ds_load_b128 v[0:3], v220 offset:29040
	s_wait_loadcnt_dscnt 0x0
	v_mul_f64_e32 v[4:5], v[8:9], v[2:3]
	v_fma_f64 v[94:95], v[6:7], v[0:1], v[4:5]
	v_mul_f64_e32 v[0:1], v[8:9], v[0:1]
	s_delay_alu instid0(VALU_DEP_1) | instskip(SKIP_4) | instid1(VALU_DEP_1)
	v_fma_f64 v[92:93], v[6:7], v[2:3], -v[0:1]
	scratch_load_b128 v[6:9], off, off offset:2092 th:TH_LOAD_LU ; 16-byte Folded Reload
	ds_load_b128 v[0:3], v220 offset:11440
	s_wait_loadcnt_dscnt 0x0
	v_mul_f64_e32 v[4:5], v[8:9], v[2:3]
	v_fma_f64 v[68:69], v[6:7], v[0:1], v[4:5]
	v_mul_f64_e32 v[0:1], v[8:9], v[0:1]
	s_delay_alu instid0(VALU_DEP_1) | instskip(SKIP_3) | instid1(VALU_DEP_1)
	v_fma_f64 v[64:65], v[6:7], v[2:3], -v[0:1]
	ds_load_b128 v[0:3], v220 offset:17600
	s_wait_dscnt 0x0
	v_mul_f64_e32 v[4:5], v[38:39], v[2:3]
	v_fma_f64 v[74:75], v[36:37], v[0:1], v[4:5]
	v_mul_f64_e32 v[0:1], v[38:39], v[0:1]
	s_delay_alu instid0(VALU_DEP_1) | instskip(SKIP_4) | instid1(VALU_DEP_1)
	v_fma_f64 v[66:67], v[36:37], v[2:3], -v[0:1]
	ds_load_b128 v[0:3], v220 offset:23760
	v_add_f64_e64 v[36:37], v[20:21], -v[22:23]
	s_wait_dscnt 0x0
	v_mul_f64_e32 v[4:5], v[42:43], v[2:3]
	v_fma_f64 v[72:73], v[40:41], v[0:1], v[4:5]
	v_mul_f64_e32 v[0:1], v[42:43], v[0:1]
	v_add_f64_e64 v[42:43], v[16:17], -v[18:19]
	s_delay_alu instid0(VALU_DEP_2) | instskip(SKIP_4) | instid1(VALU_DEP_1)
	v_fma_f64 v[70:71], v[40:41], v[2:3], -v[0:1]
	ds_load_b128 v[0:3], v220 offset:29920
	v_add_f64_e64 v[40:41], v[12:13], -v[24:25]
	s_wait_dscnt 0x0
	v_mul_f64_e32 v[4:5], v[46:47], v[2:3]
	v_fma_f64 v[78:79], v[44:45], v[0:1], v[4:5]
	v_mul_f64_e32 v[0:1], v[46:47], v[0:1]
	ds_load_b128 v[4:7], v220
	v_add_f64_e64 v[46:47], v[34:35], -v[52:53]
	v_add_f64_e64 v[158:159], v[68:69], -v[78:79]
	v_fma_f64 v[76:77], v[44:45], v[2:3], -v[0:1]
	v_add_f64_e64 v[0:1], v[12:13], -v[16:17]
	v_add_f64_e64 v[2:3], v[24:25], -v[18:19]
	s_delay_alu instid0(VALU_DEP_1) | instskip(SKIP_2) | instid1(VALU_DEP_1)
	v_add_f64_e32 v[8:9], v[0:1], v[2:3]
	v_add_f64_e64 v[0:1], v[14:15], -v[20:21]
	v_add_f64_e64 v[2:3], v[26:27], -v[22:23]
	v_add_f64_e32 v[10:11], v[0:1], v[2:3]
	v_add_f64_e32 v[0:1], v[16:17], v[18:19]
	;; [unrolled: 1-line block ×3, first 2 shown]
	s_wait_dscnt 0x0
	s_delay_alu instid0(VALU_DEP_2) | instskip(NEXT) | instid1(VALU_DEP_2)
	v_fma_f64 v[28:29], v[0:1], -0.5, v[4:5]
	v_fma_f64 v[38:39], v[2:3], -0.5, v[6:7]
	s_delay_alu instid0(VALU_DEP_2) | instskip(NEXT) | instid1(VALU_DEP_2)
	v_fma_f64 v[0:1], v[30:31], s[10:11], v[28:29]
	v_fma_f64 v[2:3], v[40:41], s[12:13], v[38:39]
	;; [unrolled: 1-line block ×4, first 2 shown]
	s_delay_alu instid0(VALU_DEP_4) | instskip(NEXT) | instid1(VALU_DEP_4)
	v_fma_f64 v[0:1], v[36:37], s[0:1], v[0:1]
	v_fma_f64 v[2:3], v[42:43], s[8:9], v[2:3]
	s_delay_alu instid0(VALU_DEP_4) | instskip(NEXT) | instid1(VALU_DEP_4)
	v_fma_f64 v[28:29], v[36:37], s[8:9], v[28:29]
	v_fma_f64 v[38:39], v[42:43], s[0:1], v[38:39]
	;; [unrolled: 3-line block ×4, first 2 shown]
	v_add_f64_e32 v[28:29], v[12:13], v[24:25]
	v_add_f64_e32 v[38:39], v[14:15], v[26:27]
	s_delay_alu instid0(VALU_DEP_2) | instskip(NEXT) | instid1(VALU_DEP_2)
	v_fma_f64 v[28:29], v[28:29], -0.5, v[4:5]
	v_fma_f64 v[38:39], v[38:39], -0.5, v[6:7]
	v_add_f64_e32 v[4:5], v[4:5], v[12:13]
	v_add_f64_e32 v[6:7], v[6:7], v[14:15]
	v_add_f64_e64 v[12:13], v[16:17], -v[12:13]
	v_fma_f64 v[44:45], v[36:37], s[12:13], v[28:29]
	v_fma_f64 v[28:29], v[36:37], s[10:11], v[28:29]
	v_add_f64_e32 v[4:5], v[4:5], v[16:17]
	v_add_f64_e32 v[6:7], v[6:7], v[20:21]
	v_add_f64_e64 v[36:37], v[18:19], -v[24:25]
	s_delay_alu instid0(VALU_DEP_3) | instskip(NEXT) | instid1(VALU_DEP_3)
	v_add_f64_e32 v[4:5], v[4:5], v[18:19]
	v_add_f64_e32 v[6:7], v[6:7], v[22:23]
	s_delay_alu instid0(VALU_DEP_2) | instskip(NEXT) | instid1(VALU_DEP_2)
	v_add_f64_e32 v[16:17], v[4:5], v[24:25]
	v_add_f64_e32 v[18:19], v[6:7], v[26:27]
	v_add_f64_e64 v[4:5], v[20:21], -v[14:15]
	v_add_f64_e64 v[6:7], v[22:23], -v[26:27]
	v_fma_f64 v[14:15], v[42:43], s[10:11], v[38:39]
	v_fma_f64 v[20:21], v[42:43], s[12:13], v[38:39]
	v_add_f64_e32 v[22:23], v[12:13], v[36:37]
	v_fma_f64 v[12:13], v[30:31], s[0:1], v[44:45]
	v_fma_f64 v[24:25], v[30:31], s[8:9], v[28:29]
	ds_load_b128 v[28:31], v220 offset:880
	v_add_f64_e64 v[38:39], v[48:49], -v[58:59]
	v_add_f64_e64 v[44:45], v[32:33], -v[56:57]
	v_add_f64_e32 v[6:7], v[4:5], v[6:7]
	v_fma_f64 v[4:5], v[40:41], s[8:9], v[14:15]
	v_fma_f64 v[20:21], v[40:41], s[0:1], v[20:21]
	v_add_f64_e64 v[40:41], v[50:51], -v[54:55]
	v_fma_f64 v[12:13], v[22:23], s[14:15], v[12:13]
	s_delay_alu instid0(VALU_DEP_4) | instskip(SKIP_4) | instid1(VALU_DEP_1)
	v_fma_f64 v[14:15], v[6:7], s[14:15], v[4:5]
	v_fma_f64 v[4:5], v[22:23], s[14:15], v[24:25]
	;; [unrolled: 1-line block ×3, first 2 shown]
	v_add_f64_e64 v[20:21], v[32:33], -v[34:35]
	v_add_f64_e64 v[22:23], v[56:57], -v[52:53]
	v_add_f64_e32 v[24:25], v[20:21], v[22:23]
	v_add_f64_e64 v[20:21], v[48:49], -v[50:51]
	v_add_f64_e64 v[22:23], v[58:59], -v[54:55]
	s_delay_alu instid0(VALU_DEP_1) | instskip(SKIP_3) | instid1(VALU_DEP_2)
	v_add_f64_e32 v[26:27], v[20:21], v[22:23]
	v_add_f64_e32 v[20:21], v[34:35], v[52:53]
	;; [unrolled: 1-line block ×3, first 2 shown]
	s_wait_dscnt 0x0
	v_fma_f64 v[36:37], v[20:21], -0.5, v[28:29]
	s_delay_alu instid0(VALU_DEP_2) | instskip(NEXT) | instid1(VALU_DEP_2)
	v_fma_f64 v[42:43], v[22:23], -0.5, v[30:31]
	v_fma_f64 v[20:21], v[38:39], s[10:11], v[36:37]
	s_delay_alu instid0(VALU_DEP_2) | instskip(SKIP_2) | instid1(VALU_DEP_4)
	v_fma_f64 v[22:23], v[44:45], s[12:13], v[42:43]
	v_fma_f64 v[36:37], v[38:39], s[12:13], v[36:37]
	;; [unrolled: 1-line block ×4, first 2 shown]
	s_delay_alu instid0(VALU_DEP_4) | instskip(NEXT) | instid1(VALU_DEP_4)
	v_fma_f64 v[22:23], v[46:47], s[8:9], v[22:23]
	v_fma_f64 v[36:37], v[40:41], s[8:9], v[36:37]
	s_delay_alu instid0(VALU_DEP_4) | instskip(NEXT) | instid1(VALU_DEP_4)
	v_fma_f64 v[42:43], v[46:47], s[0:1], v[42:43]
	v_fma_f64 v[20:21], v[24:25], s[14:15], v[20:21]
	;; [unrolled: 3-line block ×3, first 2 shown]
	s_delay_alu instid0(VALU_DEP_4) | instskip(SKIP_2) | instid1(VALU_DEP_2)
	v_fma_f64 v[26:27], v[26:27], s[14:15], v[42:43]
	v_add_f64_e32 v[36:37], v[32:33], v[56:57]
	v_add_f64_e32 v[42:43], v[48:49], v[58:59]
	v_fma_f64 v[36:37], v[36:37], -0.5, v[28:29]
	s_delay_alu instid0(VALU_DEP_2) | instskip(SKIP_2) | instid1(VALU_DEP_4)
	v_fma_f64 v[42:43], v[42:43], -0.5, v[30:31]
	v_add_f64_e32 v[28:29], v[28:29], v[32:33]
	v_add_f64_e32 v[30:31], v[30:31], v[48:49]
	v_fma_f64 v[142:143], v[40:41], s[12:13], v[36:37]
	v_fma_f64 v[36:37], v[40:41], s[10:11], v[36:37]
	s_delay_alu instid0(VALU_DEP_4) | instskip(NEXT) | instid1(VALU_DEP_4)
	v_add_f64_e32 v[28:29], v[28:29], v[34:35]
	v_add_f64_e32 v[30:31], v[30:31], v[50:51]
	v_add_f64_e64 v[40:41], v[52:53], -v[56:57]
	s_delay_alu instid0(VALU_DEP_3) | instskip(NEXT) | instid1(VALU_DEP_3)
	v_add_f64_e32 v[28:29], v[28:29], v[52:53]
	v_add_f64_e32 v[30:31], v[30:31], v[54:55]
	s_delay_alu instid0(VALU_DEP_3) | instskip(SKIP_1) | instid1(VALU_DEP_4)
	v_add_f64_e32 v[40:41], v[140:141], v[40:41]
	v_add_f64_e64 v[140:141], v[60:61], -v[134:135]
	v_add_f64_e32 v[32:33], v[28:29], v[56:57]
	s_delay_alu instid0(VALU_DEP_4)
	v_add_f64_e32 v[34:35], v[30:31], v[58:59]
	v_add_f64_e64 v[28:29], v[50:51], -v[48:49]
	v_add_f64_e64 v[30:31], v[54:55], -v[58:59]
	v_fma_f64 v[48:49], v[46:47], s[10:11], v[42:43]
	v_fma_f64 v[42:43], v[46:47], s[12:13], v[42:43]
	;; [unrolled: 1-line block ×4, first 2 shown]
	v_add_f64_e64 v[54:55], v[62:63], -v[136:137]
	v_add_f64_e64 v[56:57], v[128:129], -v[132:133]
	v_add_f64_e64 v[142:143], v[126:127], -v[130:131]
	v_add_f64_e32 v[30:31], v[28:29], v[30:31]
	v_fma_f64 v[28:29], v[44:45], s[8:9], v[48:49]
	v_fma_f64 v[42:43], v[44:45], s[0:1], v[42:43]
	;; [unrolled: 1-line block ×3, first 2 shown]
	v_add_f64_e64 v[44:45], v[136:137], -v[132:133]
	v_add_f64_e32 v[46:47], v[128:129], v[132:133]
	v_fma_f64 v[38:39], v[30:31], s[14:15], v[28:29]
	v_fma_f64 v[28:29], v[40:41], s[14:15], v[50:51]
	;; [unrolled: 1-line block ×3, first 2 shown]
	v_add_f64_e64 v[40:41], v[60:61], -v[126:127]
	v_add_f64_e64 v[42:43], v[134:135], -v[130:131]
	ds_load_b128 v[48:51], v220 offset:1760
	s_wait_dscnt 0x0
	v_fma_f64 v[58:59], v[46:47], -0.5, v[50:51]
	v_add_f64_e32 v[40:41], v[40:41], v[42:43]
	v_add_f64_e64 v[42:43], v[62:63], -v[128:129]
	s_delay_alu instid0(VALU_DEP_3) | instskip(SKIP_1) | instid1(VALU_DEP_3)
	v_fma_f64 v[46:47], v[140:141], s[12:13], v[58:59]
	v_fma_f64 v[58:59], v[140:141], s[10:11], v[58:59]
	v_add_f64_e32 v[42:43], v[42:43], v[44:45]
	v_add_f64_e32 v[44:45], v[126:127], v[130:131]
	s_delay_alu instid0(VALU_DEP_4) | instskip(NEXT) | instid1(VALU_DEP_4)
	v_fma_f64 v[46:47], v[142:143], s[8:9], v[46:47]
	v_fma_f64 v[58:59], v[142:143], s[0:1], v[58:59]
	s_delay_alu instid0(VALU_DEP_3) | instskip(NEXT) | instid1(VALU_DEP_3)
	v_fma_f64 v[52:53], v[44:45], -0.5, v[48:49]
	v_fma_f64 v[46:47], v[42:43], s[14:15], v[46:47]
	s_delay_alu instid0(VALU_DEP_3) | instskip(SKIP_1) | instid1(VALU_DEP_4)
	v_fma_f64 v[42:43], v[42:43], s[14:15], v[58:59]
	v_add_f64_e32 v[58:59], v[62:63], v[136:137]
	v_fma_f64 v[44:45], v[54:55], s[10:11], v[52:53]
	v_fma_f64 v[52:53], v[54:55], s[12:13], v[52:53]
	s_delay_alu instid0(VALU_DEP_3) | instskip(SKIP_4) | instid1(VALU_DEP_4)
	v_fma_f64 v[58:59], v[58:59], -0.5, v[50:51]
	v_add_f64_e32 v[50:51], v[50:51], v[62:63]
	v_add_f64_e64 v[62:63], v[128:129], -v[62:63]
	v_fma_f64 v[44:45], v[56:57], s[0:1], v[44:45]
	v_fma_f64 v[52:53], v[56:57], s[8:9], v[52:53]
	v_add_f64_e32 v[50:51], v[50:51], v[128:129]
	v_add_f64_e64 v[128:129], v[132:133], -v[136:137]
	s_delay_alu instid0(VALU_DEP_4) | instskip(NEXT) | instid1(VALU_DEP_4)
	v_fma_f64 v[44:45], v[40:41], s[14:15], v[44:45]
	v_fma_f64 v[40:41], v[40:41], s[14:15], v[52:53]
	v_add_f64_e32 v[52:53], v[60:61], v[134:135]
	v_add_f64_e32 v[50:51], v[50:51], v[132:133]
	v_add_f64_e32 v[62:63], v[62:63], v[128:129]
	s_delay_alu instid0(VALU_DEP_3) | instskip(SKIP_4) | instid1(VALU_DEP_4)
	v_fma_f64 v[52:53], v[52:53], -0.5, v[48:49]
	v_add_f64_e32 v[48:49], v[48:49], v[60:61]
	v_add_f64_e64 v[60:61], v[126:127], -v[60:61]
	v_add_f64_e32 v[50:51], v[50:51], v[136:137]
	v_add_f64_e64 v[136:137], v[112:113], -v[124:125]
	v_add_f64_e32 v[48:49], v[48:49], v[126:127]
	v_fma_f64 v[126:127], v[56:57], s[12:13], v[52:53]
	v_fma_f64 v[52:53], v[56:57], s[10:11], v[52:53]
	v_add_f64_e64 v[56:57], v[130:131], -v[134:135]
	s_delay_alu instid0(VALU_DEP_4) | instskip(SKIP_2) | instid1(VALU_DEP_4)
	v_add_f64_e32 v[48:49], v[48:49], v[130:131]
	v_fma_f64 v[130:131], v[142:143], s[10:11], v[58:59]
	v_fma_f64 v[58:59], v[142:143], s[12:13], v[58:59]
	v_add_f64_e32 v[56:57], v[60:61], v[56:57]
	v_fma_f64 v[60:61], v[54:55], s[0:1], v[126:127]
	v_fma_f64 v[126:127], v[54:55], s[8:9], v[52:53]
	;; [unrolled: 3-line block ×3, first 2 shown]
	v_add_f64_e64 v[140:141], v[114:115], -v[118:119]
	v_fma_f64 v[52:53], v[56:57], s[14:15], v[60:61]
	v_add_f64_e64 v[60:61], v[116:117], -v[120:121]
	v_fma_f64 v[56:57], v[56:57], s[14:15], v[126:127]
	ds_load_b128 v[126:129], v220 offset:2640
	v_fma_f64 v[54:55], v[62:63], s[14:15], v[54:55]
	v_fma_f64 v[58:59], v[62:63], s[14:15], v[58:59]
	v_add_f64_e64 v[62:63], v[138:139], -v[122:123]
	s_delay_alu instid0(VALU_DEP_1) | instskip(SKIP_2) | instid1(VALU_DEP_1)
	v_add_f64_e32 v[130:131], v[60:61], v[62:63]
	v_add_f64_e64 v[60:61], v[112:113], -v[114:115]
	v_add_f64_e64 v[62:63], v[124:125], -v[118:119]
	v_add_f64_e32 v[132:133], v[60:61], v[62:63]
	v_add_f64_e32 v[60:61], v[120:121], v[122:123]
	;; [unrolled: 1-line block ×3, first 2 shown]
	s_wait_dscnt 0x0
	s_delay_alu instid0(VALU_DEP_2) | instskip(NEXT) | instid1(VALU_DEP_2)
	v_fma_f64 v[134:135], v[60:61], -0.5, v[126:127]
	v_fma_f64 v[142:143], v[62:63], -0.5, v[128:129]
	s_delay_alu instid0(VALU_DEP_2) | instskip(NEXT) | instid1(VALU_DEP_2)
	v_fma_f64 v[60:61], v[136:137], s[10:11], v[134:135]
	v_fma_f64 v[62:63], v[144:145], s[12:13], v[142:143]
	;; [unrolled: 1-line block ×4, first 2 shown]
	s_delay_alu instid0(VALU_DEP_4) | instskip(NEXT) | instid1(VALU_DEP_4)
	v_fma_f64 v[60:61], v[140:141], s[0:1], v[60:61]
	v_fma_f64 v[62:63], v[146:147], s[8:9], v[62:63]
	s_delay_alu instid0(VALU_DEP_4) | instskip(NEXT) | instid1(VALU_DEP_4)
	v_fma_f64 v[134:135], v[140:141], s[8:9], v[134:135]
	v_fma_f64 v[142:143], v[146:147], s[0:1], v[142:143]
	;; [unrolled: 3-line block ×4, first 2 shown]
	v_add_f64_e32 v[134:135], v[116:117], v[138:139]
	v_add_f64_e32 v[142:143], v[112:113], v[124:125]
	s_delay_alu instid0(VALU_DEP_2) | instskip(NEXT) | instid1(VALU_DEP_2)
	v_fma_f64 v[134:135], v[134:135], -0.5, v[126:127]
	v_fma_f64 v[142:143], v[142:143], -0.5, v[128:129]
	v_add_f64_e32 v[126:127], v[126:127], v[116:117]
	v_add_f64_e32 v[128:129], v[128:129], v[112:113]
	v_add_f64_e64 v[116:117], v[120:121], -v[116:117]
	v_add_f64_e64 v[112:113], v[114:115], -v[112:113]
	v_fma_f64 v[148:149], v[140:141], s[12:13], v[134:135]
	v_fma_f64 v[134:135], v[140:141], s[10:11], v[134:135]
	v_add_f64_e32 v[126:127], v[126:127], v[120:121]
	v_add_f64_e32 v[120:121], v[128:129], v[114:115]
	v_add_f64_e64 v[140:141], v[122:123], -v[138:139]
	v_add_f64_e64 v[114:115], v[118:119], -v[124:125]
	s_delay_alu instid0(VALU_DEP_4) | instskip(NEXT) | instid1(VALU_DEP_4)
	v_add_f64_e32 v[126:127], v[126:127], v[122:123]
	v_add_f64_e32 v[128:129], v[120:121], v[118:119]
	v_fma_f64 v[118:119], v[146:147], s[10:11], v[142:143]
	v_add_f64_e32 v[116:117], v[116:117], v[140:141]
	s_delay_alu instid0(VALU_DEP_4) | instskip(NEXT) | instid1(VALU_DEP_4)
	v_add_f64_e32 v[120:121], v[126:127], v[138:139]
	v_add_f64_e32 v[122:123], v[128:129], v[124:125]
	v_fma_f64 v[124:125], v[146:147], s[12:13], v[142:143]
	v_fma_f64 v[126:127], v[136:137], s[0:1], v[148:149]
	;; [unrolled: 1-line block ×3, first 2 shown]
	v_add_f64_e32 v[134:135], v[112:113], v[114:115]
	v_fma_f64 v[114:115], v[144:145], s[8:9], v[118:119]
	v_add_f64_e32 v[136:137], v[98:99], v[102:103]
	v_add_f64_e64 v[142:143], v[96:97], -v[108:109]
	v_add_f64_e64 v[148:149], v[100:101], -v[110:111]
	v_fma_f64 v[118:119], v[144:145], s[0:1], v[124:125]
	v_fma_f64 v[112:113], v[116:117], s[14:15], v[126:127]
	v_add_f64_e64 v[124:125], v[100:101], -v[106:107]
	v_add_f64_e64 v[126:127], v[110:111], -v[104:105]
	v_fma_f64 v[116:117], v[116:117], s[14:15], v[128:129]
	v_fma_f64 v[114:115], v[134:135], s[14:15], v[114:115]
	v_add_f64_e64 v[144:145], v[98:99], -v[102:103]
	v_fma_f64 v[118:119], v[134:135], s[14:15], v[118:119]
	v_add_f64_e32 v[134:135], v[106:107], v[104:105]
	v_add_f64_e32 v[128:129], v[124:125], v[126:127]
	v_add_f64_e64 v[124:125], v[96:97], -v[98:99]
	v_add_f64_e64 v[126:127], v[108:109], -v[102:103]
	s_delay_alu instid0(VALU_DEP_1) | instskip(SKIP_4) | instid1(VALU_DEP_2)
	v_add_f64_e32 v[140:141], v[124:125], v[126:127]
	ds_load_b128 v[124:127], v220 offset:3520
	s_wait_dscnt 0x0
	v_fma_f64 v[138:139], v[134:135], -0.5, v[124:125]
	v_fma_f64 v[146:147], v[136:137], -0.5, v[126:127]
	v_fma_f64 v[134:135], v[142:143], s[10:11], v[138:139]
	s_delay_alu instid0(VALU_DEP_2) | instskip(SKIP_2) | instid1(VALU_DEP_4)
	v_fma_f64 v[136:137], v[148:149], s[12:13], v[146:147]
	v_fma_f64 v[138:139], v[142:143], s[12:13], v[138:139]
	;; [unrolled: 1-line block ×4, first 2 shown]
	s_delay_alu instid0(VALU_DEP_4) | instskip(NEXT) | instid1(VALU_DEP_4)
	v_fma_f64 v[136:137], v[150:151], s[8:9], v[136:137]
	v_fma_f64 v[138:139], v[144:145], s[8:9], v[138:139]
	s_delay_alu instid0(VALU_DEP_4) | instskip(NEXT) | instid1(VALU_DEP_4)
	v_fma_f64 v[146:147], v[150:151], s[0:1], v[146:147]
	v_fma_f64 v[134:135], v[128:129], s[14:15], v[134:135]
	;; [unrolled: 3-line block ×3, first 2 shown]
	s_delay_alu instid0(VALU_DEP_4) | instskip(SKIP_2) | instid1(VALU_DEP_2)
	v_fma_f64 v[140:141], v[140:141], s[14:15], v[146:147]
	v_add_f64_e32 v[128:129], v[100:101], v[110:111]
	v_add_f64_e32 v[146:147], v[96:97], v[108:109]
	v_fma_f64 v[128:129], v[128:129], -0.5, v[124:125]
	s_delay_alu instid0(VALU_DEP_2)
	v_fma_f64 v[146:147], v[146:147], -0.5, v[126:127]
	v_add_f64_e32 v[124:125], v[124:125], v[100:101]
	v_add_f64_e32 v[126:127], v[126:127], v[96:97]
	v_add_f64_e64 v[100:101], v[106:107], -v[100:101]
	v_add_f64_e64 v[96:97], v[98:99], -v[96:97]
	v_fma_f64 v[152:153], v[144:145], s[12:13], v[128:129]
	v_fma_f64 v[128:129], v[144:145], s[10:11], v[128:129]
	v_add_f64_e32 v[124:125], v[124:125], v[106:107]
	v_add_f64_e32 v[106:107], v[126:127], v[98:99]
	v_add_f64_e64 v[126:127], v[104:105], -v[110:111]
	v_add_f64_e64 v[98:99], v[102:103], -v[108:109]
	s_delay_alu instid0(VALU_DEP_4) | instskip(NEXT) | instid1(VALU_DEP_4)
	v_add_f64_e32 v[124:125], v[124:125], v[104:105]
	v_add_f64_e32 v[106:107], v[106:107], v[102:103]
	v_fma_f64 v[102:103], v[150:151], s[10:11], v[146:147]
	v_add_f64_e32 v[100:101], v[100:101], v[126:127]
	v_add_f64_e32 v[126:127], v[96:97], v[98:99]
	;; [unrolled: 1-line block ×4, first 2 shown]
	v_fma_f64 v[108:109], v[150:151], s[12:13], v[146:147]
	v_fma_f64 v[110:111], v[142:143], s[0:1], v[152:153]
	;; [unrolled: 1-line block ×4, first 2 shown]
	v_add_f64_e64 v[146:147], v[80:81], -v[92:93]
	v_add_f64_e64 v[152:153], v[84:85], -v[94:95]
	v_fma_f64 v[102:103], v[148:149], s[0:1], v[108:109]
	v_fma_f64 v[96:97], v[100:101], s[14:15], v[110:111]
	v_add_f64_e64 v[108:109], v[84:85], -v[88:89]
	v_add_f64_e64 v[110:111], v[94:95], -v[90:91]
	v_fma_f64 v[98:99], v[126:127], s[14:15], v[98:99]
	v_fma_f64 v[100:101], v[100:101], s[14:15], v[124:125]
	v_add_f64_e32 v[124:125], v[88:89], v[90:91]
	v_add_f64_e64 v[148:149], v[82:83], -v[86:87]
	v_fma_f64 v[102:103], v[126:127], s[14:15], v[102:103]
	v_add_f64_e32 v[126:127], v[82:83], v[86:87]
	v_add_f64_e32 v[128:129], v[108:109], v[110:111]
	v_add_f64_e64 v[108:109], v[80:81], -v[82:83]
	v_add_f64_e64 v[110:111], v[92:93], -v[86:87]
	s_delay_alu instid0(VALU_DEP_1) | instskip(SKIP_4) | instid1(VALU_DEP_2)
	v_add_f64_e32 v[144:145], v[108:109], v[110:111]
	ds_load_b128 v[108:111], v220 offset:4400
	s_wait_dscnt 0x0
	v_fma_f64 v[142:143], v[124:125], -0.5, v[108:109]
	v_fma_f64 v[150:151], v[126:127], -0.5, v[110:111]
	v_fma_f64 v[124:125], v[146:147], s[10:11], v[142:143]
	s_delay_alu instid0(VALU_DEP_2) | instskip(SKIP_2) | instid1(VALU_DEP_4)
	v_fma_f64 v[126:127], v[152:153], s[12:13], v[150:151]
	v_fma_f64 v[142:143], v[146:147], s[12:13], v[142:143]
	;; [unrolled: 1-line block ×4, first 2 shown]
	s_delay_alu instid0(VALU_DEP_4) | instskip(NEXT) | instid1(VALU_DEP_4)
	v_fma_f64 v[126:127], v[154:155], s[8:9], v[126:127]
	v_fma_f64 v[142:143], v[148:149], s[8:9], v[142:143]
	s_delay_alu instid0(VALU_DEP_4) | instskip(NEXT) | instid1(VALU_DEP_4)
	v_fma_f64 v[150:151], v[154:155], s[0:1], v[150:151]
	v_fma_f64 v[124:125], v[128:129], s[14:15], v[124:125]
	;; [unrolled: 3-line block ×3, first 2 shown]
	s_delay_alu instid0(VALU_DEP_4) | instskip(SKIP_2) | instid1(VALU_DEP_2)
	v_fma_f64 v[144:145], v[144:145], s[14:15], v[150:151]
	v_add_f64_e32 v[128:129], v[84:85], v[94:95]
	v_add_f64_e32 v[150:151], v[80:81], v[92:93]
	v_fma_f64 v[128:129], v[128:129], -0.5, v[108:109]
	s_delay_alu instid0(VALU_DEP_2)
	v_fma_f64 v[150:151], v[150:151], -0.5, v[110:111]
	v_add_f64_e32 v[108:109], v[108:109], v[84:85]
	v_add_f64_e32 v[110:111], v[110:111], v[80:81]
	v_add_f64_e64 v[84:85], v[88:89], -v[84:85]
	v_add_f64_e64 v[80:81], v[82:83], -v[80:81]
	v_fma_f64 v[156:157], v[148:149], s[12:13], v[128:129]
	v_fma_f64 v[128:129], v[148:149], s[10:11], v[128:129]
	v_add_f64_e32 v[108:109], v[108:109], v[88:89]
	v_add_f64_e32 v[88:89], v[110:111], v[82:83]
	v_add_f64_e64 v[148:149], v[90:91], -v[94:95]
	v_add_f64_e64 v[82:83], v[86:87], -v[92:93]
	s_delay_alu instid0(VALU_DEP_4) | instskip(NEXT) | instid1(VALU_DEP_4)
	v_add_f64_e32 v[108:109], v[108:109], v[90:91]
	v_add_f64_e32 v[110:111], v[88:89], v[86:87]
	v_fma_f64 v[86:87], v[154:155], s[10:11], v[150:151]
	v_add_f64_e32 v[84:85], v[84:85], v[148:149]
	s_delay_alu instid0(VALU_DEP_4) | instskip(NEXT) | instid1(VALU_DEP_4)
	v_add_f64_e32 v[88:89], v[108:109], v[94:95]
	v_add_f64_e32 v[90:91], v[110:111], v[92:93]
	v_fma_f64 v[92:93], v[154:155], s[12:13], v[150:151]
	v_fma_f64 v[94:95], v[146:147], s[0:1], v[156:157]
	v_add_f64_e32 v[110:111], v[80:81], v[82:83]
	v_fma_f64 v[82:83], v[152:153], s[8:9], v[86:87]
	v_fma_f64 v[108:109], v[146:147], s[8:9], v[128:129]
	v_add_f64_e64 v[150:151], v[66:67], -v[70:71]
	v_add_f64_e64 v[156:157], v[74:75], -v[72:73]
	v_fma_f64 v[86:87], v[152:153], s[0:1], v[92:93]
	v_fma_f64 v[80:81], v[84:85], s[14:15], v[94:95]
	v_add_f64_e64 v[92:93], v[74:75], -v[68:69]
	v_add_f64_e64 v[94:95], v[72:73], -v[78:79]
	v_fma_f64 v[82:83], v[110:111], s[14:15], v[82:83]
	v_fma_f64 v[84:85], v[84:85], s[14:15], v[108:109]
	v_add_f64_e32 v[108:109], v[68:69], v[78:79]
	v_add_f64_e64 v[152:153], v[64:65], -v[76:77]
	v_fma_f64 v[86:87], v[110:111], s[14:15], v[86:87]
	v_add_f64_e32 v[110:111], v[64:65], v[76:77]
	v_add_f64_e32 v[128:129], v[92:93], v[94:95]
	v_add_f64_e64 v[92:93], v[66:67], -v[64:65]
	v_add_f64_e64 v[94:95], v[70:71], -v[76:77]
	s_delay_alu instid0(VALU_DEP_1) | instskip(SKIP_4) | instid1(VALU_DEP_2)
	v_add_f64_e32 v[148:149], v[92:93], v[94:95]
	ds_load_b128 v[92:95], v220 offset:5280
	s_wait_dscnt 0x0
	v_fma_f64 v[146:147], v[108:109], -0.5, v[92:93]
	v_fma_f64 v[154:155], v[110:111], -0.5, v[94:95]
	v_fma_f64 v[108:109], v[150:151], s[12:13], v[146:147]
	s_delay_alu instid0(VALU_DEP_2) | instskip(SKIP_2) | instid1(VALU_DEP_4)
	v_fma_f64 v[110:111], v[156:157], s[10:11], v[154:155]
	v_fma_f64 v[146:147], v[150:151], s[10:11], v[146:147]
	;; [unrolled: 1-line block ×4, first 2 shown]
	s_delay_alu instid0(VALU_DEP_4) | instskip(NEXT) | instid1(VALU_DEP_4)
	v_fma_f64 v[110:111], v[158:159], s[8:9], v[110:111]
	v_fma_f64 v[146:147], v[152:153], s[8:9], v[146:147]
	s_delay_alu instid0(VALU_DEP_4) | instskip(NEXT) | instid1(VALU_DEP_4)
	v_fma_f64 v[154:155], v[158:159], s[0:1], v[154:155]
	v_fma_f64 v[108:109], v[128:129], s[14:15], v[108:109]
	;; [unrolled: 3-line block ×3, first 2 shown]
	s_delay_alu instid0(VALU_DEP_4) | instskip(SKIP_2) | instid1(VALU_DEP_2)
	v_fma_f64 v[148:149], v[148:149], s[14:15], v[154:155]
	v_add_f64_e32 v[128:129], v[74:75], v[72:73]
	v_add_f64_e32 v[154:155], v[66:67], v[70:71]
	v_fma_f64 v[128:129], v[128:129], -0.5, v[92:93]
	s_delay_alu instid0(VALU_DEP_2)
	v_fma_f64 v[154:155], v[154:155], -0.5, v[94:95]
	v_add_f64_e32 v[92:93], v[92:93], v[68:69]
	v_add_f64_e32 v[94:95], v[94:95], v[64:65]
	v_add_f64_e64 v[68:69], v[68:69], -v[74:75]
	v_add_f64_e64 v[64:65], v[64:65], -v[66:67]
	v_fma_f64 v[160:161], v[152:153], s[10:11], v[128:129]
	v_fma_f64 v[128:129], v[152:153], s[12:13], v[128:129]
	v_add_f64_e32 v[92:93], v[92:93], v[74:75]
	v_add_f64_e32 v[74:75], v[94:95], v[66:67]
	v_add_f64_e64 v[94:95], v[78:79], -v[72:73]
	v_add_f64_e64 v[66:67], v[76:77], -v[70:71]
	s_delay_alu instid0(VALU_DEP_4) | instskip(NEXT) | instid1(VALU_DEP_4)
	v_add_f64_e32 v[92:93], v[92:93], v[72:73]
	v_add_f64_e32 v[74:75], v[74:75], v[70:71]
	v_fma_f64 v[70:71], v[158:159], s[12:13], v[154:155]
	v_add_f64_e32 v[68:69], v[68:69], v[94:95]
	v_add_f64_e32 v[94:95], v[64:65], v[66:67]
	;; [unrolled: 1-line block ×4, first 2 shown]
	v_fma_f64 v[76:77], v[158:159], s[10:11], v[154:155]
	v_fma_f64 v[78:79], v[150:151], s[0:1], v[160:161]
	v_fma_f64 v[66:67], v[156:157], s[8:9], v[70:71]
	v_fma_f64 v[92:93], v[150:151], s[8:9], v[128:129]
	s_delay_alu instid0(VALU_DEP_4) | instskip(NEXT) | instid1(VALU_DEP_4)
	v_fma_f64 v[70:71], v[156:157], s[0:1], v[76:77]
	v_fma_f64 v[64:65], v[68:69], s[14:15], v[78:79]
	s_delay_alu instid0(VALU_DEP_4) | instskip(NEXT) | instid1(VALU_DEP_4)
	v_fma_f64 v[66:67], v[94:95], s[14:15], v[66:67]
	v_fma_f64 v[68:69], v[68:69], s[14:15], v[92:93]
	s_mul_u64 s[0:1], s[4:5], 0x1130
	s_delay_alu instid0(VALU_DEP_4)
	v_fma_f64 v[70:71], v[94:95], s[14:15], v[70:71]
	ds_store_b128 v220, v[16:19]
	ds_store_b128 v220, v[32:35] offset:880
	ds_store_b128 v220, v[12:15] offset:12320
	;; [unrolled: 1-line block ×34, first 2 shown]
	global_wb scope:SCOPE_SE
	s_wait_dscnt 0x0
	s_barrier_signal -1
	s_barrier_wait -1
	global_inv scope:SCOPE_SE
	s_clause 0x7
	scratch_load_b128 v[6:9], off, off offset:220 th:TH_LOAD_LU
	scratch_load_b128 v[26:29], off, off offset:236 th:TH_LOAD_LU
	;; [unrolled: 1-line block ×8, first 2 shown]
	ds_load_b128 v[0:3], v220
	s_clause 0x10
	scratch_load_b128 v[38:41], off, off offset:348 th:TH_LOAD_LU
	scratch_load_b128 v[42:45], off, off offset:364 th:TH_LOAD_LU
	;; [unrolled: 1-line block ×17, first 2 shown]
	s_wait_loadcnt_dscnt 0x1800
	v_mul_f64_e32 v[4:5], v[8:9], v[2:3]
	s_delay_alu instid0(VALU_DEP_1) | instskip(SKIP_1) | instid1(VALU_DEP_1)
	v_fma_f64 v[4:5], v[6:7], v[0:1], v[4:5]
	v_mul_f64_e32 v[0:1], v[8:9], v[0:1]
	v_fma_f64 v[6:7], v[6:7], v[2:3], -v[0:1]
	ds_load_b128 v[0:3], v220 offset:4400
	s_wait_loadcnt_dscnt 0x1600
	v_mul_f64_e32 v[8:9], v[12:13], v[2:3]
	s_delay_alu instid0(VALU_DEP_1) | instskip(SKIP_1) | instid1(VALU_DEP_1)
	v_fma_f64 v[8:9], v[10:11], v[0:1], v[8:9]
	v_mul_f64_e32 v[0:1], v[12:13], v[0:1]
	v_fma_f64 v[10:11], v[10:11], v[2:3], -v[0:1]
	ds_load_b128 v[0:3], v220 offset:8800
	;; [unrolled: 7-line block ×4, first 2 shown]
	s_wait_dscnt 0x0
	v_mul_f64_e32 v[20:21], v[24:25], v[2:3]
	s_delay_alu instid0(VALU_DEP_1) | instskip(SKIP_1) | instid1(VALU_DEP_1)
	v_fma_f64 v[20:21], v[22:23], v[0:1], v[20:21]
	v_mul_f64_e32 v[0:1], v[24:25], v[0:1]
	v_fma_f64 v[22:23], v[22:23], v[2:3], -v[0:1]
	ds_load_b128 v[0:3], v220 offset:22000
	s_wait_dscnt 0x0
	v_mul_f64_e32 v[24:25], v[28:29], v[2:3]
	s_delay_alu instid0(VALU_DEP_1) | instskip(SKIP_1) | instid1(VALU_DEP_1)
	v_fma_f64 v[24:25], v[26:27], v[0:1], v[24:25]
	v_mul_f64_e32 v[0:1], v[28:29], v[0:1]
	v_fma_f64 v[26:27], v[26:27], v[2:3], -v[0:1]
	ds_load_b128 v[0:3], v220 offset:26400
	;; [unrolled: 7-line block ×3, first 2 shown]
	s_wait_loadcnt_dscnt 0x1100
	v_mul_f64_e32 v[32:33], v[36:37], v[2:3]
	s_delay_alu instid0(VALU_DEP_1) | instskip(SKIP_1) | instid1(VALU_DEP_1)
	v_fma_f64 v[32:33], v[34:35], v[0:1], v[32:33]
	v_mul_f64_e32 v[0:1], v[36:37], v[0:1]
	v_fma_f64 v[34:35], v[34:35], v[2:3], -v[0:1]
	ds_load_b128 v[0:3], v220 offset:5280
	s_wait_loadcnt_dscnt 0x1000
	v_mul_f64_e32 v[36:37], v[40:41], v[2:3]
	s_delay_alu instid0(VALU_DEP_1) | instskip(SKIP_1) | instid1(VALU_DEP_1)
	v_fma_f64 v[36:37], v[38:39], v[0:1], v[36:37]
	v_mul_f64_e32 v[0:1], v[40:41], v[0:1]
	v_fma_f64 v[38:39], v[38:39], v[2:3], -v[0:1]
	ds_load_b128 v[0:3], v220 offset:9680
	;; [unrolled: 7-line block ×10, first 2 shown]
	s_wait_dscnt 0x0
	v_mul_f64_e32 v[72:73], v[76:77], v[2:3]
	s_delay_alu instid0(VALU_DEP_1) | instskip(SKIP_1) | instid1(VALU_DEP_1)
	v_fma_f64 v[72:73], v[74:75], v[0:1], v[72:73]
	v_mul_f64_e32 v[0:1], v[76:77], v[0:1]
	v_fma_f64 v[74:75], v[74:75], v[2:3], -v[0:1]
	ds_load_b128 v[0:3], v220 offset:19360
	s_wait_loadcnt_dscnt 0x300
	v_mul_f64_e32 v[76:77], v[80:81], v[2:3]
	s_delay_alu instid0(VALU_DEP_1) | instskip(SKIP_1) | instid1(VALU_DEP_1)
	v_fma_f64 v[76:77], v[78:79], v[0:1], v[76:77]
	v_mul_f64_e32 v[0:1], v[80:81], v[0:1]
	v_fma_f64 v[78:79], v[78:79], v[2:3], -v[0:1]
	ds_load_b128 v[0:3], v220 offset:23760
	s_wait_loadcnt_dscnt 0x200
	;; [unrolled: 7-line block ×3, first 2 shown]
	v_mul_f64_e32 v[84:85], v[88:89], v[2:3]
	s_delay_alu instid0(VALU_DEP_1) | instskip(SKIP_1) | instid1(VALU_DEP_1)
	v_fma_f64 v[84:85], v[86:87], v[0:1], v[84:85]
	v_mul_f64_e32 v[0:1], v[88:89], v[0:1]
	v_fma_f64 v[86:87], v[86:87], v[2:3], -v[0:1]
	ds_load_b128 v[0:3], v220 offset:2640
	s_wait_dscnt 0x0
	v_mul_f64_e32 v[88:89], v[92:93], v[2:3]
	s_delay_alu instid0(VALU_DEP_1) | instskip(SKIP_1) | instid1(VALU_DEP_1)
	v_fma_f64 v[88:89], v[90:91], v[0:1], v[88:89]
	v_mul_f64_e32 v[0:1], v[92:93], v[0:1]
	v_fma_f64 v[90:91], v[90:91], v[2:3], -v[0:1]
	ds_load_b128 v[0:3], v220 offset:7040
	s_wait_loadcnt_dscnt 0x0
	v_mul_f64_e32 v[92:93], v[96:97], v[2:3]
	s_delay_alu instid0(VALU_DEP_1) | instskip(SKIP_1) | instid1(VALU_DEP_1)
	v_fma_f64 v[92:93], v[94:95], v[0:1], v[92:93]
	v_mul_f64_e32 v[0:1], v[96:97], v[0:1]
	v_fma_f64 v[94:95], v[94:95], v[2:3], -v[0:1]
	ds_load_b128 v[0:3], v220 offset:11440
	s_wait_dscnt 0x0
	v_mul_f64_e32 v[96:97], v[100:101], v[2:3]
	s_delay_alu instid0(VALU_DEP_1) | instskip(SKIP_1) | instid1(VALU_DEP_1)
	v_fma_f64 v[96:97], v[98:99], v[0:1], v[96:97]
	v_mul_f64_e32 v[0:1], v[100:101], v[0:1]
	v_fma_f64 v[98:99], v[98:99], v[2:3], -v[0:1]
	ds_load_b128 v[0:3], v220 offset:15840
	s_wait_dscnt 0x0
	v_mul_f64_e32 v[100:101], v[104:105], v[2:3]
	s_delay_alu instid0(VALU_DEP_1)
	v_fma_f64 v[100:101], v[102:103], v[0:1], v[100:101]
	v_mul_f64_e32 v[0:1], v[104:105], v[0:1]
	scratch_load_b32 v104, off, off th:TH_LOAD_LU ; 4-byte Folded Reload
	v_fma_f64 v[102:103], v[102:103], v[2:3], -v[0:1]
	scratch_load_b64 v[0:1], off, off offset:212 th:TH_LOAD_LU ; 8-byte Folded Reload
	s_wait_loadcnt 0x0
	v_mov_b32_e32 v2, v0
	s_delay_alu instid0(VALU_DEP_1) | instskip(NEXT) | instid1(VALU_DEP_1)
	v_mad_co_u64_u32 v[0:1], null, s6, v2, 0
	v_mad_co_u64_u32 v[1:2], null, s7, v2, v[1:2]
	;; [unrolled: 1-line block ×3, first 2 shown]
	s_movk_i32 s6, 0x9c50
	s_mov_b32 s7, -1
	s_delay_alu instid0(VALU_DEP_2) | instskip(NEXT) | instid1(VALU_DEP_2)
	v_lshlrev_b64_e32 v[0:1], 4, v[0:1]
	v_mad_co_u64_u32 v[104:105], null, s5, v104, v[3:4]
	s_wait_alu 0xfffe
	s_mul_u64 s[4:5], s[4:5], s[6:7]
	s_delay_alu instid0(VALU_DEP_1) | instskip(NEXT) | instid1(VALU_DEP_3)
	v_mov_b32_e32 v3, v104
	v_add_co_u32 v104, vcc_lo, s2, v0
	s_wait_alu 0xfffd
	v_add_co_ci_u32_e32 v105, vcc_lo, s3, v1, vcc_lo
	s_delay_alu instid0(VALU_DEP_3)
	v_lshlrev_b64_e32 v[0:1], 4, v[2:3]
	s_mov_b32 s2, 0xebc93598
	s_mov_b32 s3, 0x3f4105b7
	s_wait_alu 0xfffe
	v_mul_f64_e32 v[2:3], s[2:3], v[6:7]
	v_mul_f64_e32 v[6:7], s[2:3], v[46:47]
	v_add_co_u32 v104, vcc_lo, v104, v0
	s_wait_alu 0xfffd
	v_add_co_ci_u32_e32 v105, vcc_lo, v105, v1, vcc_lo
	v_mul_f64_e32 v[0:1], s[2:3], v[4:5]
	s_delay_alu instid0(VALU_DEP_3) | instskip(SKIP_1) | instid1(VALU_DEP_3)
	v_add_co_u32 v4, vcc_lo, v104, s0
	s_wait_alu 0xfffd
	v_add_co_ci_u32_e32 v5, vcc_lo, s1, v105, vcc_lo
	global_store_b128 v[104:105], v[0:3], off
	v_mul_f64_e32 v[0:1], s[2:3], v[8:9]
	v_mul_f64_e32 v[2:3], s[2:3], v[10:11]
	;; [unrolled: 1-line block ×4, first 2 shown]
	global_store_b128 v[4:5], v[0:3], off
	v_mul_f64_e32 v[0:1], s[2:3], v[12:13]
	v_mul_f64_e32 v[2:3], s[2:3], v[14:15]
	v_add_co_u32 v4, vcc_lo, v4, s0
	s_wait_alu 0xfffd
	v_add_co_ci_u32_e32 v5, vcc_lo, s1, v5, vcc_lo
	v_mul_f64_e32 v[12:13], s[2:3], v[52:53]
	v_mul_f64_e32 v[14:15], s[2:3], v[54:55]
	global_store_b128 v[4:5], v[0:3], off
	v_mul_f64_e32 v[0:1], s[2:3], v[16:17]
	v_mul_f64_e32 v[2:3], s[2:3], v[18:19]
	v_add_co_u32 v4, vcc_lo, v4, s0
	s_wait_alu 0xfffd
	v_add_co_ci_u32_e32 v5, vcc_lo, s1, v5, vcc_lo
	v_mul_f64_e32 v[18:19], s[2:3], v[58:59]
	global_store_b128 v[4:5], v[0:3], off
	v_mul_f64_e32 v[0:1], s[2:3], v[20:21]
	v_mul_f64_e32 v[2:3], s[2:3], v[22:23]
	v_add_co_u32 v4, vcc_lo, v4, s0
	s_wait_alu 0xfffd
	v_add_co_ci_u32_e32 v5, vcc_lo, s1, v5, vcc_lo
	global_store_b128 v[4:5], v[0:3], off
	v_mul_f64_e32 v[0:1], s[2:3], v[24:25]
	v_mul_f64_e32 v[2:3], s[2:3], v[26:27]
	v_add_co_u32 v4, vcc_lo, v4, s0
	s_wait_alu 0xfffd
	v_add_co_ci_u32_e32 v5, vcc_lo, s1, v5, vcc_lo
	v_mul_f64_e32 v[26:27], s[2:3], v[66:67]
	global_store_b128 v[4:5], v[0:3], off
	v_mul_f64_e32 v[0:1], s[2:3], v[28:29]
	v_mul_f64_e32 v[2:3], s[2:3], v[30:31]
	v_add_co_u32 v4, vcc_lo, v4, s0
	s_wait_alu 0xfffd
	v_add_co_ci_u32_e32 v5, vcc_lo, s1, v5, vcc_lo
	v_mul_f64_e32 v[28:29], s[2:3], v[68:69]
	v_mul_f64_e32 v[30:31], s[2:3], v[70:71]
	scratch_load_b128 v[66:69], off, off offset:396 th:TH_LOAD_LU ; 16-byte Folded Reload
	global_store_b128 v[4:5], v[0:3], off
	v_mul_f64_e32 v[0:1], s[2:3], v[32:33]
	v_mul_f64_e32 v[2:3], s[2:3], v[34:35]
	v_add_co_u32 v4, vcc_lo, v4, s4
	s_wait_alu 0xfffd
	v_add_co_ci_u32_e32 v5, vcc_lo, s5, v5, vcc_lo
	v_mul_f64_e32 v[34:35], s[2:3], v[74:75]
	s_delay_alu instid0(VALU_DEP_3) | instskip(SKIP_1) | instid1(VALU_DEP_3)
	v_add_co_u32 v16, vcc_lo, v4, s0
	s_wait_alu 0xfffd
	v_add_co_ci_u32_e32 v17, vcc_lo, s1, v5, vcc_lo
	s_delay_alu instid0(VALU_DEP_2) | instskip(SKIP_1) | instid1(VALU_DEP_2)
	v_add_co_u32 v20, vcc_lo, v16, s0
	s_wait_alu 0xfffd
	v_add_co_ci_u32_e32 v21, vcc_lo, s1, v17, vcc_lo
	s_delay_alu instid0(VALU_DEP_2) | instskip(SKIP_1) | instid1(VALU_DEP_2)
	;; [unrolled: 4-line block ×3, first 2 shown]
	v_add_co_u32 v32, vcc_lo, v24, s0
	s_wait_alu 0xfffd
	v_add_co_ci_u32_e32 v33, vcc_lo, s1, v25, vcc_lo
	global_store_b128 v[4:5], v[0:3], off
	v_mul_f64_e32 v[0:1], s[2:3], v[36:37]
	v_mul_f64_e32 v[2:3], s[2:3], v[38:39]
	;; [unrolled: 1-line block ×3, first 2 shown]
	v_add_co_u32 v36, vcc_lo, v32, s0
	s_wait_alu 0xfffd
	v_add_co_ci_u32_e32 v37, vcc_lo, s1, v33, vcc_lo
	global_store_b128 v[16:17], v[0:3], off
	v_mul_f64_e32 v[0:1], s[2:3], v[40:41]
	v_mul_f64_e32 v[2:3], s[2:3], v[42:43]
	;; [unrolled: 1-line block ×3, first 2 shown]
	v_add_co_u32 v40, vcc_lo, v36, s0
	s_wait_alu 0xfffd
	v_add_co_ci_u32_e32 v41, vcc_lo, s1, v37, vcc_lo
	s_delay_alu instid0(VALU_DEP_2) | instskip(SKIP_1) | instid1(VALU_DEP_2)
	v_add_co_u32 v42, vcc_lo, v40, s4
	s_wait_alu 0xfffd
	v_add_co_ci_u32_e32 v43, vcc_lo, s5, v41, vcc_lo
	s_delay_alu instid0(VALU_DEP_2) | instskip(SKIP_1) | instid1(VALU_DEP_2)
	v_add_co_u32 v46, vcc_lo, v42, s0
	s_wait_alu 0xfffd
	v_add_co_ci_u32_e32 v47, vcc_lo, s1, v43, vcc_lo
	global_store_b128 v[20:21], v[0:3], off
	v_mul_f64_e32 v[2:3], s[2:3], v[62:63]
	global_store_b128 v[24:25], v[4:7], off
	v_mul_f64_e32 v[24:25], s[2:3], v[64:65]
	scratch_load_b128 v[62:65], off, off offset:412 th:TH_LOAD_LU ; 16-byte Folded Reload
	ds_load_b128 v[4:7], v220 offset:20240
	v_mul_f64_e32 v[0:1], s[2:3], v[60:61]
	global_store_b128 v[32:33], v[8:11], off
	v_mul_f64_e32 v[32:33], s[2:3], v[72:73]
	global_store_b128 v[36:37], v[12:15], off
	ds_load_b128 v[36:39], v220 offset:24640
	global_store_b128 v[40:41], v[16:19], off
	ds_load_b128 v[20:23], v220 offset:3520
	ds_load_b128 v[8:11], v220 offset:29040
	v_mul_f64_e32 v[12:13], s[2:3], v[76:77]
	v_mul_f64_e32 v[14:15], s[2:3], v[78:79]
	;; [unrolled: 1-line block ×4, first 2 shown]
	s_clause 0x1
	scratch_load_b128 v[72:75], off, off offset:460 th:TH_LOAD_LU
	scratch_load_b128 v[76:79], off, off offset:476 th:TH_LOAD_LU
	global_store_b128 v[42:43], v[0:3], off
	v_add_co_u32 v42, vcc_lo, v46, s0
	s_wait_alu 0xfffd
	v_add_co_ci_u32_e32 v43, vcc_lo, s1, v47, vcc_lo
	global_store_b128 v[46:47], v[24:27], off
	v_add_co_u32 v24, vcc_lo, v42, s0
	s_wait_alu 0xfffd
	v_add_co_ci_u32_e32 v25, vcc_lo, s1, v43, vcc_lo
	global_store_b128 v[42:43], v[28:31], off
	ds_load_b128 v[0:3], v220 offset:7920
	v_add_co_u32 v42, vcc_lo, v24, s0
	global_store_b128 v[24:25], v[32:35], off
	s_wait_alu 0xfffd
	v_add_co_ci_u32_e32 v43, vcc_lo, s1, v25, vcc_lo
	v_mul_f64_e32 v[24:25], s[2:3], v[84:85]
	v_mul_f64_e32 v[26:27], s[2:3], v[86:87]
	v_add_co_u32 v32, vcc_lo, v42, s0
	s_wait_alu 0xfffd
	v_add_co_ci_u32_e32 v33, vcc_lo, s1, v43, vcc_lo
	v_mul_f64_e32 v[34:35], s[2:3], v[90:91]
	v_mul_f64_e32 v[46:47], s[2:3], v[98:99]
	s_wait_loadcnt_dscnt 0x303
	v_mul_f64_e32 v[48:49], v[68:69], v[38:39]
	v_mul_f64_e32 v[50:51], v[68:69], v[36:37]
	s_delay_alu instid0(VALU_DEP_2) | instskip(NEXT) | instid1(VALU_DEP_2)
	v_fma_f64 v[48:49], v[66:67], v[36:37], v[48:49]
	v_fma_f64 v[50:51], v[66:67], v[38:39], -v[50:51]
	s_wait_loadcnt 0x2
	v_mul_f64_e32 v[40:41], v[64:65], v[6:7]
	v_mul_f64_e32 v[44:45], v[64:65], v[4:5]
	v_add_co_u32 v64, vcc_lo, v32, s0
	s_wait_alu 0xfffd
	v_add_co_ci_u32_e32 v65, vcc_lo, s1, v33, vcc_lo
	s_wait_loadcnt_dscnt 0x101
	v_mul_f64_e32 v[52:53], v[74:75], v[10:11]
	v_mul_f64_e32 v[54:55], v[74:75], v[8:9]
	s_wait_loadcnt 0x0
	v_mul_f64_e32 v[56:57], v[78:79], v[22:23]
	v_mul_f64_e32 v[58:59], v[78:79], v[20:21]
	v_fma_f64 v[60:61], v[62:63], v[4:5], v[40:41]
	v_fma_f64 v[62:63], v[62:63], v[6:7], -v[44:45]
	ds_load_b128 v[4:7], v220 offset:12320
	ds_load_b128 v[28:31], v220 offset:21120
	scratch_load_b128 v[80:83], off, off offset:428 th:TH_LOAD_LU ; 16-byte Folded Reload
	global_store_b128 v[42:43], v[12:15], off
	ds_load_b128 v[12:15], v220 offset:16720
	global_store_b128 v[32:33], v[16:19], off
	ds_load_b128 v[16:19], v220 offset:25520
	v_mul_f64_e32 v[32:33], s[2:3], v[88:89]
	v_mul_f64_e32 v[40:41], s[2:3], v[92:93]
	ds_load_b128 v[36:39], v220 offset:29920
	v_mul_f64_e32 v[42:43], s[2:3], v[94:95]
	v_mul_f64_e32 v[44:45], s[2:3], v[96:97]
	global_store_b128 v[64:65], v[24:27], off
	v_fma_f64 v[52:53], v[72:73], v[8:9], v[52:53]
	v_fma_f64 v[54:55], v[72:73], v[10:11], -v[54:55]
	v_fma_f64 v[20:21], v[76:77], v[20:21], v[56:57]
	v_fma_f64 v[22:23], v[76:77], v[22:23], -v[58:59]
	v_add_co_u32 v26, vcc_lo, v64, s4
	s_wait_alu 0xfffd
	v_add_co_ci_u32_e32 v27, vcc_lo, s5, v65, vcc_lo
	s_delay_alu instid0(VALU_DEP_2) | instskip(SKIP_1) | instid1(VALU_DEP_2)
	v_add_co_u32 v64, vcc_lo, v26, s0
	s_wait_alu 0xfffd
	v_add_co_ci_u32_e32 v65, vcc_lo, s1, v27, vcc_lo
	global_store_b128 v[26:27], v[32:35], off
	v_add_co_u32 v26, vcc_lo, v64, s0
	s_wait_alu 0xfffd
	v_add_co_ci_u32_e32 v27, vcc_lo, s1, v65, vcc_lo
	s_wait_loadcnt_dscnt 0x5
	v_mul_f64_e32 v[66:67], v[82:83], v[2:3]
	v_mul_f64_e32 v[68:69], v[82:83], v[0:1]
	scratch_load_b128 v[82:85], off, off offset:444 th:TH_LOAD_LU ; 16-byte Folded Reload
	v_fma_f64 v[32:33], v[80:81], v[0:1], v[66:67]
	v_fma_f64 v[34:35], v[80:81], v[2:3], -v[68:69]
	v_mul_f64_e32 v[0:1], s[2:3], v[100:101]
	v_mul_f64_e32 v[2:3], s[2:3], v[102:103]
	s_wait_loadcnt_dscnt 0x4
	v_mul_f64_e32 v[70:71], v[84:85], v[6:7]
	v_mul_f64_e32 v[8:9], v[84:85], v[4:5]
	scratch_load_b128 v[84:87], off, off offset:492 th:TH_LOAD_LU ; 16-byte Folded Reload
	s_wait_loadcnt_dscnt 0x2
	v_mul_f64_e32 v[10:11], v[86:87], v[14:15]
	v_mul_f64_e32 v[72:73], v[86:87], v[12:13]
	scratch_load_b128 v[86:89], off, off offset:508 th:TH_LOAD_LU ; 16-byte Folded Reload
	s_wait_loadcnt 0x0
	v_mul_f64_e32 v[74:75], v[88:89], v[30:31]
	v_mul_f64_e32 v[56:57], v[88:89], v[28:29]
	scratch_load_b128 v[88:91], off, off offset:524 th:TH_LOAD_LU ; 16-byte Folded Reload
	v_fma_f64 v[56:57], v[86:87], v[30:31], -v[56:57]
	s_wait_loadcnt_dscnt 0x1
	v_mul_f64_e32 v[58:59], v[90:91], v[18:19]
	v_mul_f64_e32 v[76:77], v[90:91], v[16:17]
	scratch_load_b128 v[90:93], off, off offset:540 th:TH_LOAD_LU ; 16-byte Folded Reload
	global_store_b128 v[64:65], v[40:43], off
	global_store_b128 v[26:27], v[44:47], off
	v_fma_f64 v[40:41], v[82:83], v[4:5], v[70:71]
	v_fma_f64 v[42:43], v[82:83], v[6:7], -v[8:9]
	v_fma_f64 v[44:45], v[84:85], v[12:13], v[10:11]
	v_fma_f64 v[46:47], v[84:85], v[14:15], -v[72:73]
	v_fma_f64 v[64:65], v[86:87], v[28:29], v[74:75]
	v_mul_f64_e32 v[4:5], s[2:3], v[60:61]
	v_mul_f64_e32 v[6:7], s[2:3], v[62:63]
	v_add_co_u32 v72, vcc_lo, v26, s0
	s_wait_alu 0xfffd
	v_add_co_ci_u32_e32 v73, vcc_lo, s1, v27, vcc_lo
	v_mul_f64_e32 v[8:9], s[2:3], v[48:49]
	s_delay_alu instid0(VALU_DEP_3) | instskip(SKIP_1) | instid1(VALU_DEP_3)
	v_add_co_u32 v60, vcc_lo, v72, s0
	s_wait_alu 0xfffd
	v_add_co_ci_u32_e32 v61, vcc_lo, s1, v73, vcc_lo
	v_mul_f64_e32 v[10:11], s[2:3], v[50:51]
	s_delay_alu instid0(VALU_DEP_3) | instskip(SKIP_1) | instid1(VALU_DEP_3)
	v_add_co_u32 v48, vcc_lo, v60, s0
	s_wait_alu 0xfffd
	v_add_co_ci_u32_e32 v49, vcc_lo, s1, v61, vcc_lo
	v_mul_f64_e32 v[12:13], s[2:3], v[52:53]
	v_mul_f64_e32 v[14:15], s[2:3], v[54:55]
	v_add_co_u32 v50, vcc_lo, v48, s0
	s_wait_alu 0xfffd
	v_add_co_ci_u32_e32 v51, vcc_lo, s1, v49, vcc_lo
	global_store_b128 v[72:73], v[0:3], off
	v_fma_f64 v[58:59], v[88:89], v[16:17], v[58:59]
	v_fma_f64 v[66:67], v[88:89], v[18:19], -v[76:77]
	v_mul_f64_e32 v[16:17], s[2:3], v[20:21]
	v_mul_f64_e32 v[18:19], s[2:3], v[22:23]
	;; [unrolled: 1-line block ×9, first 2 shown]
	v_add_co_u32 v44, vcc_lo, v50, s4
	s_wait_alu 0xfffd
	v_add_co_ci_u32_e32 v45, vcc_lo, s5, v51, vcc_lo
	global_store_b128 v[60:61], v[4:7], off
	v_add_co_u32 v0, vcc_lo, v44, s0
	s_wait_alu 0xfffd
	v_add_co_ci_u32_e32 v1, vcc_lo, s1, v45, vcc_lo
	global_store_b128 v[48:49], v[8:11], off
	v_add_co_u32 v2, vcc_lo, v0, s0
	s_wait_alu 0xfffd
	v_add_co_ci_u32_e32 v3, vcc_lo, s1, v1, vcc_lo
	s_delay_alu instid0(VALU_DEP_2) | instskip(SKIP_1) | instid1(VALU_DEP_2)
	v_add_co_u32 v4, vcc_lo, v2, s0
	s_wait_alu 0xfffd
	v_add_co_ci_u32_e32 v5, vcc_lo, s1, v3, vcc_lo
	global_store_b128 v[50:51], v[12:15], off
	v_add_co_u32 v6, vcc_lo, v4, s0
	s_wait_alu 0xfffd
	v_add_co_ci_u32_e32 v7, vcc_lo, s1, v5, vcc_lo
	s_delay_alu instid0(VALU_DEP_2) | instskip(SKIP_1) | instid1(VALU_DEP_2)
	v_add_co_u32 v8, vcc_lo, v6, s0
	s_wait_alu 0xfffd
	v_add_co_ci_u32_e32 v9, vcc_lo, s1, v7, vcc_lo
	global_store_b128 v[44:45], v[16:19], off
	global_store_b128 v[0:1], v[20:23], off
	v_add_co_u32 v0, vcc_lo, v8, s0
	s_wait_alu 0xfffd
	v_add_co_ci_u32_e32 v1, vcc_lo, s1, v9, vcc_lo
	s_wait_loadcnt_dscnt 0x0
	v_mul_f64_e32 v[78:79], v[92:93], v[38:39]
	v_mul_f64_e32 v[24:25], v[92:93], v[36:37]
	s_delay_alu instid0(VALU_DEP_2) | instskip(NEXT) | instid1(VALU_DEP_2)
	v_fma_f64 v[68:69], v[90:91], v[36:37], v[78:79]
	v_fma_f64 v[70:71], v[90:91], v[38:39], -v[24:25]
	v_mul_f64_e32 v[24:25], s[2:3], v[40:41]
	v_mul_f64_e32 v[36:37], s[2:3], v[58:59]
	;; [unrolled: 1-line block ×5, first 2 shown]
	global_store_b128 v[2:3], v[24:27], off
	global_store_b128 v[4:5], v[28:31], off
	;; [unrolled: 1-line block ×5, first 2 shown]
.LBB0_10:
	s_nop 0
	s_sendmsg sendmsg(MSG_DEALLOC_VGPRS)
	s_endpgm
	.section	.rodata,"a",@progbits
	.p2align	6, 0x0
	.amdhsa_kernel bluestein_single_fwd_len1925_dim1_dp_op_CI_CI
		.amdhsa_group_segment_fixed_size 30800
		.amdhsa_private_segment_fixed_size 2288
		.amdhsa_kernarg_size 104
		.amdhsa_user_sgpr_count 2
		.amdhsa_user_sgpr_dispatch_ptr 0
		.amdhsa_user_sgpr_queue_ptr 0
		.amdhsa_user_sgpr_kernarg_segment_ptr 1
		.amdhsa_user_sgpr_dispatch_id 0
		.amdhsa_user_sgpr_private_segment_size 0
		.amdhsa_wavefront_size32 1
		.amdhsa_uses_dynamic_stack 0
		.amdhsa_enable_private_segment 1
		.amdhsa_system_sgpr_workgroup_id_x 1
		.amdhsa_system_sgpr_workgroup_id_y 0
		.amdhsa_system_sgpr_workgroup_id_z 0
		.amdhsa_system_sgpr_workgroup_info 0
		.amdhsa_system_vgpr_workitem_id 0
		.amdhsa_next_free_vgpr 256
		.amdhsa_next_free_sgpr 40
		.amdhsa_reserve_vcc 1
		.amdhsa_float_round_mode_32 0
		.amdhsa_float_round_mode_16_64 0
		.amdhsa_float_denorm_mode_32 3
		.amdhsa_float_denorm_mode_16_64 3
		.amdhsa_fp16_overflow 0
		.amdhsa_workgroup_processor_mode 1
		.amdhsa_memory_ordered 1
		.amdhsa_forward_progress 0
		.amdhsa_round_robin_scheduling 0
		.amdhsa_exception_fp_ieee_invalid_op 0
		.amdhsa_exception_fp_denorm_src 0
		.amdhsa_exception_fp_ieee_div_zero 0
		.amdhsa_exception_fp_ieee_overflow 0
		.amdhsa_exception_fp_ieee_underflow 0
		.amdhsa_exception_fp_ieee_inexact 0
		.amdhsa_exception_int_div_zero 0
	.end_amdhsa_kernel
	.text
.Lfunc_end0:
	.size	bluestein_single_fwd_len1925_dim1_dp_op_CI_CI, .Lfunc_end0-bluestein_single_fwd_len1925_dim1_dp_op_CI_CI
                                        ; -- End function
	.section	.AMDGPU.csdata,"",@progbits
; Kernel info:
; codeLenInByte = 59928
; NumSgprs: 42
; NumVgprs: 256
; ScratchSize: 2288
; MemoryBound: 0
; FloatMode: 240
; IeeeMode: 1
; LDSByteSize: 30800 bytes/workgroup (compile time only)
; SGPRBlocks: 5
; VGPRBlocks: 31
; NumSGPRsForWavesPerEU: 42
; NumVGPRsForWavesPerEU: 256
; Occupancy: 2
; WaveLimiterHint : 1
; COMPUTE_PGM_RSRC2:SCRATCH_EN: 1
; COMPUTE_PGM_RSRC2:USER_SGPR: 2
; COMPUTE_PGM_RSRC2:TRAP_HANDLER: 0
; COMPUTE_PGM_RSRC2:TGID_X_EN: 1
; COMPUTE_PGM_RSRC2:TGID_Y_EN: 0
; COMPUTE_PGM_RSRC2:TGID_Z_EN: 0
; COMPUTE_PGM_RSRC2:TIDIG_COMP_CNT: 0
	.text
	.p2alignl 7, 3214868480
	.fill 96, 4, 3214868480
	.type	__hip_cuid_df47b4f10c90c1c8,@object ; @__hip_cuid_df47b4f10c90c1c8
	.section	.bss,"aw",@nobits
	.globl	__hip_cuid_df47b4f10c90c1c8
__hip_cuid_df47b4f10c90c1c8:
	.byte	0                               ; 0x0
	.size	__hip_cuid_df47b4f10c90c1c8, 1

	.ident	"AMD clang version 19.0.0git (https://github.com/RadeonOpenCompute/llvm-project roc-6.4.0 25133 c7fe45cf4b819c5991fe208aaa96edf142730f1d)"
	.section	".note.GNU-stack","",@progbits
	.addrsig
	.addrsig_sym __hip_cuid_df47b4f10c90c1c8
	.amdgpu_metadata
---
amdhsa.kernels:
  - .args:
      - .actual_access:  read_only
        .address_space:  global
        .offset:         0
        .size:           8
        .value_kind:     global_buffer
      - .actual_access:  read_only
        .address_space:  global
        .offset:         8
        .size:           8
        .value_kind:     global_buffer
      - .actual_access:  read_only
        .address_space:  global
        .offset:         16
        .size:           8
        .value_kind:     global_buffer
      - .actual_access:  read_only
        .address_space:  global
        .offset:         24
        .size:           8
        .value_kind:     global_buffer
      - .actual_access:  read_only
        .address_space:  global
        .offset:         32
        .size:           8
        .value_kind:     global_buffer
      - .offset:         40
        .size:           8
        .value_kind:     by_value
      - .address_space:  global
        .offset:         48
        .size:           8
        .value_kind:     global_buffer
      - .address_space:  global
        .offset:         56
        .size:           8
        .value_kind:     global_buffer
      - .address_space:  global
        .offset:         64
        .size:           8
        .value_kind:     global_buffer
      - .address_space:  global
        .offset:         72
        .size:           8
        .value_kind:     global_buffer
      - .offset:         80
        .size:           4
        .value_kind:     by_value
      - .address_space:  global
        .offset:         88
        .size:           8
        .value_kind:     global_buffer
      - .address_space:  global
        .offset:         96
        .size:           8
        .value_kind:     global_buffer
    .group_segment_fixed_size: 30800
    .kernarg_segment_align: 8
    .kernarg_segment_size: 104
    .language:       OpenCL C
    .language_version:
      - 2
      - 0
    .max_flat_workgroup_size: 55
    .name:           bluestein_single_fwd_len1925_dim1_dp_op_CI_CI
    .private_segment_fixed_size: 2288
    .sgpr_count:     42
    .sgpr_spill_count: 0
    .symbol:         bluestein_single_fwd_len1925_dim1_dp_op_CI_CI.kd
    .uniform_work_group_size: 1
    .uses_dynamic_stack: false
    .vgpr_count:     256
    .vgpr_spill_count: 674
    .wavefront_size: 32
    .workgroup_processor_mode: 1
amdhsa.target:   amdgcn-amd-amdhsa--gfx1201
amdhsa.version:
  - 1
  - 2
...

	.end_amdgpu_metadata
